;; amdgpu-corpus repo=ROCm/Tensile kind=harvested arch=n/a opt=n/a

/******************************************/
/* Function Prefix                        */
/******************************************/



/******************************************/
/* Begin Kernel                           */
/******************************************/

// Component.Signature.SignatureDefault
.amdgcn_target "amdgcn-amd-amdhsa--gfx942"
.text
.protected Cijk_Ailk_Bjlk_SB_MT32x256x16_MI16x16x4x1_SN_1LDSB1_APM1_AF0EM1_AF1EM1_AMAS0_ASGT211_ASLT033_333_ASEM1_BL1_BS1_CLR0_DTVA0_DTVB1_ETSP_EPS1_ELFLR0_EMLL0_FSSC10_FL0_GLVWA2_GLVWB4_GRCGA1_GRCGB1_GRVW4_GSU1_GSUASB_GLS0_IU1_K1_LBSPPA0_LBSPPB0_LPA16_LPB0_LRVW1_MIAV0_MKFGSU256_NTA0_NTB1_NTC0_NTD0_NEPBS0_NLCA1_NLCB1_ONLL1_PK0_PGR2_PLR5_PKA0_SIA3_SS0_SU32_SUM0_SUS256_SPO0_SRVW0_SSO0_SVW4_TSGRA0_TSGRB0_TT2_64_TLDS0_UMLDSA0_UMLDSB0_USFGROn1_VAW1_VSn1_VW1_VWB4_VFLRP0_WSGRA0_WSGRB0_WG16_16_1_WGM1
.globl Cijk_Ailk_Bjlk_SB_MT32x256x16_MI16x16x4x1_SN_1LDSB1_APM1_AF0EM1_AF1EM1_AMAS0_ASGT211_ASLT033_333_ASEM1_BL1_BS1_CLR0_DTVA0_DTVB1_ETSP_EPS1_ELFLR0_EMLL0_FSSC10_FL0_GLVWA2_GLVWB4_GRCGA1_GRCGB1_GRVW4_GSU1_GSUASB_GLS0_IU1_K1_LBSPPA0_LBSPPB0_LPA16_LPB0_LRVW1_MIAV0_MKFGSU256_NTA0_NTB1_NTC0_NTD0_NEPBS0_NLCA1_NLCB1_ONLL1_PK0_PGR2_PLR5_PKA0_SIA3_SS0_SU32_SUM0_SUS256_SPO0_SRVW0_SSO0_SVW4_TSGRA0_TSGRB0_TT2_64_TLDS0_UMLDSA0_UMLDSB0_USFGROn1_VAW1_VSn1_VW1_VWB4_VFLRP0_WSGRA0_WSGRB0_WG16_16_1_WGM1
.p2align 8
.type Cijk_Ailk_Bjlk_SB_MT32x256x16_MI16x16x4x1_SN_1LDSB1_APM1_AF0EM1_AF1EM1_AMAS0_ASGT211_ASLT033_333_ASEM1_BL1_BS1_CLR0_DTVA0_DTVB1_ETSP_EPS1_ELFLR0_EMLL0_FSSC10_FL0_GLVWA2_GLVWB4_GRCGA1_GRCGB1_GRVW4_GSU1_GSUASB_GLS0_IU1_K1_LBSPPA0_LBSPPB0_LPA16_LPB0_LRVW1_MIAV0_MKFGSU256_NTA0_NTB1_NTC0_NTD0_NEPBS0_NLCA1_NLCB1_ONLL1_PK0_PGR2_PLR5_PKA0_SIA3_SS0_SU32_SUM0_SUS256_SPO0_SRVW0_SSO0_SVW4_TSGRA0_TSGRB0_TT2_64_TLDS0_UMLDSA0_UMLDSB0_USFGROn1_VAW1_VSn1_VW1_VWB4_VFLRP0_WSGRA0_WSGRB0_WG16_16_1_WGM1,@function
.section .rodata,#alloc
.p2align 6
.amdhsa_kernel Cijk_Ailk_Bjlk_SB_MT32x256x16_MI16x16x4x1_SN_1LDSB1_APM1_AF0EM1_AF1EM1_AMAS0_ASGT211_ASLT033_333_ASEM1_BL1_BS1_CLR0_DTVA0_DTVB1_ETSP_EPS1_ELFLR0_EMLL0_FSSC10_FL0_GLVWA2_GLVWB4_GRCGA1_GRCGB1_GRVW4_GSU1_GSUASB_GLS0_IU1_K1_LBSPPA0_LBSPPB0_LPA16_LPB0_LRVW1_MIAV0_MKFGSU256_NTA0_NTB1_NTC0_NTD0_NEPBS0_NLCA1_NLCB1_ONLL1_PK0_PGR2_PLR5_PKA0_SIA3_SS0_SU32_SUM0_SUS256_SPO0_SRVW0_SSO0_SVW4_TSGRA0_TSGRB0_TT2_64_TLDS0_UMLDSA0_UMLDSB0_USFGROn1_VAW1_VSn1_VW1_VWB4_VFLRP0_WSGRA0_WSGRB0_WG16_16_1_WGM1
  .amdhsa_user_sgpr_kernarg_segment_ptr 1
  .amdhsa_user_sgpr_kernarg_preload_offset 0
  .amdhsa_user_sgpr_kernarg_preload_length 0
  .amdhsa_user_sgpr_count 2
  .amdhsa_accum_offset 64 // accvgpr offset
  .amdhsa_next_free_vgpr 96 // vgprs
  .amdhsa_next_free_sgpr 60 // sgprs
  .amdhsa_group_segment_fixed_size 3072 // lds bytes
  .amdhsa_private_segment_fixed_size 0
  .amdhsa_system_sgpr_workgroup_id_x 1
  .amdhsa_system_sgpr_workgroup_id_y 1
  .amdhsa_system_sgpr_workgroup_id_z 1
  .amdhsa_system_vgpr_workitem_id 0
  .amdhsa_float_denorm_mode_32 3
  .amdhsa_float_denorm_mode_16_64 3
.end_amdhsa_kernel
.text

/******************************************/
/* Optimizations and Config:              */
/******************************************/
/* ThreadTile= 8 x 4 */
/* SubGroup= 4 x 64 */
/* VectorWidthA=1 */
/* VectorWidthB=4 */
/* GlobalLoadVectorWidthA=2, GlobalLoadVectorWidthB=4 */
/* DirectToLdsA=False */
/* DirectToLdsB=False */
/* UseSgprForGRO=False */
.amdgpu_metadata
---
amdhsa.version:
  - 1
  - 1
amdhsa.target: amdgcn-amd-amdhsa--gfx942
amdhsa.kernels:
  - .name: Cijk_Ailk_Bjlk_SB_MT32x256x16_MI16x16x4x1_SN_1LDSB1_APM1_AF0EM1_AF1EM1_AMAS0_ASGT211_ASLT033_333_ASEM1_BL1_BS1_CLR0_DTVA0_DTVB1_ETSP_EPS1_ELFLR0_EMLL0_FSSC10_FL0_GLVWA2_GLVWB4_GRCGA1_GRCGB1_GRVW4_GSU1_GSUASB_GLS0_IU1_K1_LBSPPA0_LBSPPB0_LPA16_LPB0_LRVW1_MIAV0_MKFGSU256_NTA0_NTB1_NTC0_NTD0_NEPBS0_NLCA1_NLCB1_ONLL1_PK0_PGR2_PLR5_PKA0_SIA3_SS0_SU32_SUM0_SUS256_SPO0_SRVW0_SSO0_SVW4_TSGRA0_TSGRB0_TT2_64_TLDS0_UMLDSA0_UMLDSB0_USFGROn1_VAW1_VSn1_VW1_VWB4_VFLRP0_WSGRA0_WSGRB0_WG16_16_1_WGM1
    .symbol: 'Cijk_Ailk_Bjlk_SB_MT32x256x16_MI16x16x4x1_SN_1LDSB1_APM1_AF0EM1_AF1EM1_AMAS0_ASGT211_ASLT033_333_ASEM1_BL1_BS1_CLR0_DTVA0_DTVB1_ETSP_EPS1_ELFLR0_EMLL0_FSSC10_FL0_GLVWA2_GLVWB4_GRCGA1_GRCGB1_GRVW4_GSU1_GSUASB_GLS0_IU1_K1_LBSPPA0_LBSPPB0_LPA16_LPB0_LRVW1_MIAV0_MKFGSU256_NTA0_NTB1_NTC0_NTD0_NEPBS0_NLCA1_NLCB1_ONLL1_PK0_PGR2_PLR5_PKA0_SIA3_SS0_SU32_SUM0_SUS256_SPO0_SRVW0_SSO0_SVW4_TSGRA0_TSGRB0_TT2_64_TLDS0_UMLDSA0_UMLDSB0_USFGROn1_VAW1_VSn1_VW1_VWB4_VFLRP0_WSGRA0_WSGRB0_WG16_16_1_WGM1.kd'
    .language:                   OpenCL C
    .language_version:
      - 2
      - 0
    .args:
      - .name:            Tensor2dSizeA
        .size:            8
        .offset:          0
        .value_kind:      by_value
        .value_type:      u64
      - .name:            Tensor2dSizeB
        .size:            8
        .offset:          8
        .value_kind:      by_value
        .value_type:      u64
      - .name:            AddressD
        .size:            8
        .offset:          16
        .value_kind:      by_value
        .value_type:      u64
      - .name:            AddressC
        .size:            8
        .offset:          24
        .value_kind:      by_value
        .value_type:      u64
      - .name:            AddressA
        .size:            8
        .offset:          32
        .value_kind:      by_value
        .value_type:      u64
      - .name:            AddressB
        .size:            8
        .offset:          40
        .value_kind:      by_value
        .value_type:      u64
      - .name:            Alpha
        .size:            4
        .offset:          48
        .value_kind:      by_value
        .value_type:      u32
      - .name:            Beta
        .size:            4
        .offset:          52
        .value_kind:      by_value
        .value_type:      u32
      - .name:            StridesD
        .size:            8
        .offset:          56
        .value_kind:      by_value
        .value_type:      u64
      - .name:            StridesC
        .size:            8
        .offset:          64
        .value_kind:      by_value
        .value_type:      u64
      - .name:            StridesA
        .size:            8
        .offset:          72
        .value_kind:      by_value
        .value_type:      u64
      - .name:            StridesB
        .size:            8
        .offset:          80
        .value_kind:      by_value
        .value_type:      u64
      - .name:            SizesFree
        .size:            12
        .offset:          88
        .value_kind:      by_value
        .value_type:      u96
      - .name:            SizesSum
        .size:            4
        .offset:          100
        .value_kind:      by_value
        .value_type:      u32
      - .name:            OrigStaggerUIter
        .size:            4
        .offset:          104
        .value_kind:      by_value
        .value_type:      u32
      - .name:            NumWorkGroups0
        .size:            4
        .offset:          108
        .value_kind:      by_value
        .value_type:      u32
      - .name:            NumWorkGroups1
        .size:            4
        .offset:          112
        .value_kind:      by_value
        .value_type:      u32
    .group_segment_fixed_size:   3072
    .kernarg_segment_align:      8
    .kernarg_segment_size:       120
    .max_flat_workgroup_size:    256
    .private_segment_fixed_size: 0
    .sgpr_count:                 60
    .sgpr_spill_count:           0
    .vgpr_count:                 64
    .vgpr_spill_count:           0
    .wavefront_size:             64
...
.end_amdgpu_metadata
Cijk_Ailk_Bjlk_SB_MT32x256x16_MI16x16x4x1_SN_1LDSB1_APM1_AF0EM1_AF1EM1_AMAS0_ASGT211_ASLT033_333_ASEM1_BL1_BS1_CLR0_DTVA0_DTVB1_ETSP_EPS1_ELFLR0_EMLL0_FSSC10_FL0_GLVWA2_GLVWB4_GRCGA1_GRCGB1_GRVW4_GSU1_GSUASB_GLS0_IU1_K1_LBSPPA0_LBSPPB0_LPA16_LPB0_LRVW1_MIAV0_MKFGSU256_NTA0_NTB1_NTC0_NTD0_NEPBS0_NLCA1_NLCB1_ONLL1_PK0_PGR2_PLR5_PKA0_SIA3_SS0_SU32_SUM0_SUS256_SPO0_SRVW0_SSO0_SVW4_TSGRA0_TSGRB0_TT2_64_TLDS0_UMLDSA0_UMLDSB0_USFGROn1_VAW1_VSn1_VW1_VWB4_VFLRP0_WSGRA0_WSGRB0_WG16_16_1_WGM1:

/******************************************/
/* Asm syntax workarounds                 */
/******************************************/
.macro _v_add_co_u32 dst:req, cc:req, src0:req, src1:req, dpp=
   v_add_co_u32 \dst, \cc, \src0, \src1 \dpp
.endm

.macro _v_add_u32 dst:req, src0:req, src1:req, dpp=
   v_add_u32 \dst, \src0, \src1 \dpp
.endm

.macro _v_add_i32 dst:req, src0:req, src1:req, dpp=
   v_add_i32 \dst, \src0, \src1 \dpp
.endm

.macro _v_addc_co_u32 dst:req, ccOut:req, src0:req, ccIn:req, src1:req, dpp=
   v_addc_co_u32 \dst, \ccOut, \src0, \ccIn, \src1 \dpp
.endm

.macro _v_sub_co_u32 dst:req, cc:req, src0:req, src1:req, dpp=
   v_sub_co_u32 \dst, \cc, \src0, \src1 \dpp
.endm

.macro _v_sub_u32 dst:req, src0:req, src1:req, dpp=
   v_sub_u32 \dst, \src0, \src1 \dpp
.endm

.macro _v_sub_i32 dst:req, src0:req, src1:req, dpp=
   v_sub_i32 \dst, \src0, \src1 \dpp
.endm

.macro _v_add_lshl_u32 dst:req, src0:req, src1:req, shiftCnt:req
    v_add_lshl_u32 \dst, \src0, \src1, \shiftCnt
.endm

.macro _v_lshl_add_u32 dst:req, src0:req, src1:req, shiftCnt:req
    v_lshl_add_u32 \dst, \src0, \src1, \shiftCnt
.endm

.macro _v_lshl_or_b32 dst:req, src0:req, shiftCnt:req, src1:req
    v_lshl_or_b32 \dst, \src0, \shiftCnt, \src1
.endm

.macro _v_dot2acc_f32_f16 dst, src0, src1
v_dot2c_f32_f16 \dst, \src0, \src1
.endm

.macro _v_cmpx_lt_i16 dst, src0, src1=
   v_cmpx_lt_i16 \dst, \src0, \src1 
.endm

.macro _v_cmpx_lt_i32 dst, src0, src1=
   v_cmpx_lt_i32 \dst, \src0, \src1 
.endm

.macro _v_cmpx_lt_i64 dst, src0, src1=
   v_cmpx_lt_i64 \dst, \src0, \src1 
.endm

.macro _v_cmpx_lt_u16 dst, src0, src1=
   v_cmpx_lt_u16 \dst, \src0, \src1 
.endm

.macro _v_cmpx_lt_u32 dst, src0, src1=
   v_cmpx_lt_u32 \dst, \src0, \src1 
.endm

.macro _v_cmpx_lt_u64 dst, src0, src1=
   v_cmpx_lt_u64 \dst, \src0, \src1 
.endm

.macro _v_cmpx_eq_i16 dst, src0, src1=
   v_cmpx_eq_i16 \dst, \src0, \src1 
.endm

.macro _v_cmpx_eq_i32 dst, src0, src1=
   v_cmpx_eq_i32 \dst, \src0, \src1 
.endm

.macro _v_cmpx_eq_i64 dst, src0, src1=
   v_cmpx_eq_i64 \dst, \src0, \src1 
.endm

.macro _v_cmpx_eq_u16 dst, src0, src1=
   v_cmpx_eq_u16 \dst, \src0, \src1 
.endm

.macro _v_cmpx_eq_u32 dst, src0, src1=
   v_cmpx_eq_u32 \dst, \src0, \src1 
.endm

.macro _v_cmpx_eq_u64 dst, src0, src1=
   v_cmpx_eq_u64 \dst, \src0, \src1 
.endm

.macro _v_cmpx_le_i16 dst, src0, src1=
   v_cmpx_le_i16 \dst, \src0, \src1 
.endm

.macro _v_cmpx_le_i32 dst, src0, src1=
   v_cmpx_le_i32 \dst, \src0, \src1 
.endm

.macro _v_cmpx_le_i64 dst, src0, src1=
   v_cmpx_le_i64 \dst, \src0, \src1 
.endm

.macro _v_cmpx_le_u16 dst, src0, src1=
   v_cmpx_le_u16 \dst, \src0, \src1 
.endm

.macro _v_cmpx_le_u32 dst, src0, src1=
   v_cmpx_le_u32 \dst, \src0, \src1 
.endm

.macro _v_cmpx_le_u64 dst, src0, src1=
   v_cmpx_le_u64 \dst, \src0, \src1 
.endm

.macro _v_cmpx_gt_i16 dst, src0, src1=
   v_cmpx_gt_i16 \dst, \src0, \src1 
.endm

.macro _v_cmpx_gt_i32 dst, src0, src1=
   v_cmpx_gt_i32 \dst, \src0, \src1 
.endm

.macro _v_cmpx_gt_i64 dst, src0, src1=
   v_cmpx_gt_i64 \dst, \src0, \src1 
.endm

.macro _v_cmpx_gt_u16 dst, src0, src1=
   v_cmpx_gt_u16 \dst, \src0, \src1 
.endm

.macro _v_cmpx_gt_u32 dst, src0, src1=
   v_cmpx_gt_u32 \dst, \src0, \src1 
.endm

.macro _v_cmpx_gt_u64 dst, src0, src1=
   v_cmpx_gt_u64 \dst, \src0, \src1 
.endm

.macro _v_cmpx_ne_i16 dst, src0, src1=
   v_cmpx_ne_i16 \dst, \src0, \src1 
.endm

.macro _v_cmpx_ne_i32 dst, src0, src1=
   v_cmpx_ne_i32 \dst, \src0, \src1 
.endm

.macro _v_cmpx_ne_i64 dst, src0, src1=
   v_cmpx_ne_i64 \dst, \src0, \src1 
.endm

.macro _v_cmpx_ne_u16 dst, src0, src1=
   v_cmpx_ne_u16 \dst, \src0, \src1 
.endm

.macro _v_cmpx_ne_u32 dst, src0, src1=
   v_cmpx_ne_u32 \dst, \src0, \src1 
.endm

.macro _v_cmpx_ne_u64 dst, src0, src1=
   v_cmpx_ne_u64 \dst, \src0, \src1 
.endm

.macro _v_cmpx_lg_i16 dst, src0, src1=
   v_cmpx_lg_i16 \dst, \src0, \src1 
.endm

.macro _v_cmpx_lg_i32 dst, src0, src1=
   v_cmpx_lg_i32 \dst, \src0, \src1 
.endm

.macro _v_cmpx_lg_i64 dst, src0, src1=
   v_cmpx_lg_i64 \dst, \src0, \src1 
.endm

.macro _v_cmpx_lg_u16 dst, src0, src1=
   v_cmpx_lg_u16 \dst, \src0, \src1 
.endm

.macro _v_cmpx_lg_u32 dst, src0, src1=
   v_cmpx_lg_u32 \dst, \src0, \src1 
.endm

.macro _v_cmpx_lg_u64 dst, src0, src1=
   v_cmpx_lg_u64 \dst, \src0, \src1 
.endm

.macro _v_cmpx_ge_i16 dst, src0, src1=
   v_cmpx_ge_i16 \dst, \src0, \src1 
.endm

.macro _v_cmpx_ge_i32 dst, src0, src1=
   v_cmpx_ge_i32 \dst, \src0, \src1 
.endm

.macro _v_cmpx_ge_i64 dst, src0, src1=
   v_cmpx_ge_i64 \dst, \src0, \src1 
.endm

.macro _v_cmpx_ge_u16 dst, src0, src1=
   v_cmpx_ge_u16 \dst, \src0, \src1 
.endm

.macro _v_cmpx_ge_u32 dst, src0, src1=
   v_cmpx_ge_u32 \dst, \src0, \src1 
.endm

.macro _v_cmpx_ge_u64 dst, src0, src1=
   v_cmpx_ge_u64 \dst, \src0, \src1 
.endm

.macro _v_cmpx_o_i16 dst, src0, src1=
   v_cmpx_o_i16 \dst, \src0, \src1 
.endm

.macro _v_cmpx_o_i32 dst, src0, src1=
   v_cmpx_o_i32 \dst, \src0, \src1 
.endm

.macro _v_cmpx_o_i64 dst, src0, src1=
   v_cmpx_o_i64 \dst, \src0, \src1 
.endm

.macro _v_cmpx_o_u16 dst, src0, src1=
   v_cmpx_o_u16 \dst, \src0, \src1 
.endm

.macro _v_cmpx_o_u32 dst, src0, src1=
   v_cmpx_o_u32 \dst, \src0, \src1 
.endm

.macro _v_cmpx_o_u64 dst, src0, src1=
   v_cmpx_o_u64 \dst, \src0, \src1 
.endm

.macro _v_cmpx_u_i16 dst, src0, src1=
   v_cmpx_u_i16 \dst, \src0, \src1 
.endm

.macro _v_cmpx_u_i32 dst, src0, src1=
   v_cmpx_u_i32 \dst, \src0, \src1 
.endm

.macro _v_cmpx_u_i64 dst, src0, src1=
   v_cmpx_u_i64 \dst, \src0, \src1 
.endm

.macro _v_cmpx_u_u16 dst, src0, src1=
   v_cmpx_u_u16 \dst, \src0, \src1 
.endm

.macro _v_cmpx_u_u32 dst, src0, src1=
   v_cmpx_u_u32 \dst, \src0, \src1 
.endm

.macro _v_cmpx_u_u64 dst, src0, src1=
   v_cmpx_u_u64 \dst, \src0, \src1 
.endm
.macro _v_mac_f32 c:req, a:req, b:req
    v_fmac_f32 \c, \a, \b
.endmacro

/* scale global load macros */
.macro _s_load_b32 dst base offset
    s_load_dword \dst \base \offset
.endm

.macro _s_load_b64 dst base offset
    s_load_dwordx2 \dst \base \offset
.endm

.macro _s_load_b128 dst base offset
    s_load_dwordx4 \dst \base \offset
.endm

.macro _s_load_b256 dst base offset
    s_load_dwordx8 \dst \base \offset
.endm

.macro _s_load_b512 dst base offset
    s_load_dwordx16 \dst \base \offset
.endm


/* ds operation macros */
.macro _ds_load_u8 dst src offset
    ds_read_u8 \dst \src \offset
.endm

.macro _ds_load_u8_d16_hi dst src offset
    ds_read_u8_d16_hi \dst \src \offset
.endm

.macro _ds_load_u16 dst src offset
    ds_read_u16 \dst \src \offset
.endm

.macro _ds_load_u16_d16_hi dst src offset
    ds_read_u16_d16_hi \dst \src \offset
.endm

.macro _ds_load_b32 dst src offset
    ds_read_b32 \dst \src \offset
.endm

.macro _ds_load_b64 dst src offset
    ds_read_b64 \dst \src \offset
.endm

.macro _ds_load_b128 dst src offset
    ds_read_b128 \dst \src \offset
.endm

.macro _ds_store_b8 dst src offset
    ds_write_b8 \dst \src \offset
.endm

.macro _ds_store_b8_d16_hi dst src offset
    ds_write_b8_d16_hi \dst \src \offset
.endm

.macro _ds_store_b16 dst src offset
    ds_write_b16 \dst \src \offset
.endm

.macro _ds_store_b16_d16_hi dst src offset
    ds_write_b16_d16_hi \dst \src \offset
.endm

.macro _ds_store_b32 dst src offset
    ds_write_b32 \dst \src \offset
.endm

.macro _ds_store_b64 dst src offset
    ds_write_b64 \dst \src \offset
.endm

.macro _ds_store_b128 dst src offset
    ds_write_b128 \dst \src \offset
.endm

.macro _ds_load2_b32 dst src offset1 offset2
    ds_read2_b32 \dst \src \offset1 \offset2
.endm

.macro _ds_load2_b64 dst src offset1 offset2
    ds_read2_b64 \dst \src \offset1 \offset2
.endm

.macro _ds_store2_b32 dst src offset1 offset2
    ds_write2_b32 \dst \src \offset1 \offset2
.endm

.macro _ds_store2_b64 dst src offset1 offset2
    ds_write2_b64 \dst \src \offset1 \offset2
.endm


/* buffer memory operation macros */
.macro _buffer_load_b32 dst voffset base soffset offen ioffset md0 md1 md2
    buffer_load_dword \dst \voffset \base \soffset \offen \ioffset \md0 \md1 \md2
.endm

.macro _buffer_load_b64 dst voffset base soffset offen ioffset md0 md1 md2
    buffer_load_dwordx2 \dst \voffset \base \soffset \offen \ioffset \md0 \md1 \md2
.endm

.macro _buffer_load_b96 dst voffset base soffset offen ioffset md0 md1 md2
    buffer_load_dwordx3 \dst \voffset \base \soffset \offen \ioffset \md0 \md1 \md2
.endm

.macro _buffer_load_b128 dst voffset base soffset offen ioffset md0 md1 md2
    buffer_load_dwordx4 \dst \voffset \base \soffset \offen \ioffset \md0 \md1 \md2
.endm

.macro _buffer_load_d16_b16 dst voffset base soffset offen ioffset md0 md1 md2
    buffer_load_short_d16 \dst \voffset \base \soffset \offen \ioffset \md0 \md1 \md2
.endm

.macro _buffer_load_d16_hi_b16 dst voffset base soffset offen ioffset md0 md1 md2
    buffer_load_short_d16_hi \dst \voffset \base \soffset \offen \ioffset \md0 \md1 \md2
.endm

.macro _buffer_load_d16_u8 dst voffset base soffset offen ioffset md0 md1 md2
    buffer_load_ubyte_d16 \dst \voffset \base \soffset \offen \ioffset \md0 \md1 \md2
.endm

.macro _buffer_load_d16_hi_u8 dst voffset base soffset offen ioffset md0 md1 md2
    buffer_load_ubyte_d16_hi \dst \voffset \base \soffset \offen \ioffset \md0 \md1 \md2
.endm

.macro _buffer_load_u16 dst voffset base soffset offen ioffset md0 md1 md2
    buffer_load_ushort \dst \voffset \base \soffset \offen \ioffset \md0 \md1 \md2
.endm

.macro _buffer_load_b32_dtl voffset base soffset offen ioffset md0 md1 md2
    buffer_load_dword \voffset \base \soffset \offen \ioffset \md0 \md1 \md2
.endm

.macro _buffer_load_b64_dtl voffset base soffset offen ioffset md0 md1 md2
    buffer_load_dwordx2 \voffset \base \soffset \offen \ioffset \md0 \md1 \md2
.endm

.macro _buffer_load_b128_dtl voffset base soffset offen ioffset md0 md1 md2
    buffer_load_dwordx4 \voffset \base \soffset \offen \ioffset \md0 \md1 \md2
.endm

.macro _buffer_load_u16_dtl voffset base soffset offen ioffset md0 md1 md2
    buffer_load_ushort \voffset \base \soffset \offen \ioffset \md0 \md1 \md2
.endm

.macro _buffer_store_b32 src voffset base soffset offen ioffset md0 md1 md2
    buffer_store_dword \src \voffset \base \soffset \offen \ioffset \md0 \md1 \md2
.endm

.macro _buffer_store_b64 src voffset base soffset offen ioffset md0 md1 md2
    buffer_store_dwordx2 \src \voffset \base \soffset \offen \ioffset \md0 \md1 \md2
.endm

.macro _buffer_store_b96 src voffset base soffset offen ioffset md0 md1 md2
    buffer_store_dwordx3 \src \voffset \base \soffset \offen \ioffset \md0 \md1 \md2
.endm

.macro _buffer_store_b128 src voffset base soffset offen ioffset md0 md1 md2
    buffer_store_dwordx4 \src \voffset \base \soffset \offen \ioffset \md0 \md1 \md2
.endm

.macro _buffer_store_b16 src voffset base soffset offen ioffset md0 md1 md2
    buffer_store_short \src \voffset \base \soffset \offen \ioffset \md0 \md1 \md2
.endm

.macro _buffer_store_d16_hi_b16 src voffset base soffset offen ioffset md0 md1 md2
    buffer_store_short_d16_hi \src \voffset \base \soffset \offen \ioffset \md0 \md1 \md2
.endm

.macro _buffer_store_b8 src voffset base soffset offen ioffset md0 md1 md2
    buffer_store_byte \src \voffset \base \soffset \offen \ioffset \md0 \md1 \md2
.endm

.macro _buffer_store_d16_hi_b8 src voffset base soffset offen ioffset md0 md1 md2
    buffer_store_byte_d16_hi \src \voffset \base \soffset \offen \ioffset \md0 \md1 \md2
.endm

.macro _buffer_atomic_cmpswap_b32 dst voffset base soffset offen ioffset md0 md1 md2
    buffer_atomic_cmpswap \dst \voffset \base \soffset \offen \ioffset \md0 \md1 \md2
.endm

.macro _buffer_atomic_cmpswap_b64 dst voffset base soffset offen ioffset md0 md1 md2
    buffer_atomic_cmpswap_x2 \dst \voffset \base \soffset \offen \ioffset \md0 \md1 \md2
.endm


/* buffer memory operation macros */
.macro _global_load_b32 dst base src ioffset md0 md1 md2
    global_load_dword \dst \base \src \ioffset \md0 \md1 \md2
.endm

.macro _global_load_b64 dst base src ioffset md0 md1 md2
    global_load_dwordx2 \dst \base \src \ioffset \md0 \md1 \md2
.endm

.macro _global_load_b96 dst base src ioffset md0 md1 md2
    global_load_dwordx3 \dst \base \src \ioffset \md0 \md1 \md2
.endm

.macro _global_load_b128 dst base src ioffset md0 md1 md2
    global_load_dwordx4 \dst \base \src \ioffset \md0 \md1 \md2
.endm

.macro _global_load_d16_b16 dst base src ioffset md0 md1 md2
    global_load_short_d16 \dst \base \src \ioffset \md0 \md1 \md2
.endm

.macro _global_load_d16_hi_b16 dst base src ioffset md0 md1 md2
    global_load_short_d16_hi \dst \base \src \ioffset \md0 \md1 \md2
.endm

.macro _global_load_d16_u8 dst base src ioffset md0 md1 md2
    global_load_ubyte_d16 \dst \base \src \ioffset \md0 \md1 \md2
.endm

.macro _global_load_d16_hi_u8 dst base src ioffset md0 md1 md2
    global_load_ubyte_d16_hi \dst \base \src \ioffset \md0 \md1 \md2
.endm

.macro _global_load_u16 dst base src ioffset md0 md1 md2
    global_load_ushort \dst \base \src \ioffset \md0 \md1 \md2
.endm

.macro _global_store_b32 base src src2 md0 md1 md2
    global_store_dword \base \src \src2 \md0 \md1 \md2
.endm

.macro _global_store_b64 base src src2 md0 md1 md2
    global_store_dwordx2 \base \src \src2 \md0 \md1 \md2
.endm

.macro _global_store_b96 base src src2 md0 md1 md2
    global_store_dwordx3 \base \src \src2 \md0 \md1 \md2
.endm

.macro _global_store_b128 base src src2 md0 md1 md2
    global_store_dwordx4 \base \src \src2 \md0 \md1 \md2
.endm

.macro _global_store_d16_b16 base src src2 md0 md1 md2
    global_store_short \base \src \src2 \md0 \md1 \md2
.endm

.macro _global_store_d16_hi_b16 base src src2 md0 md1 md2
    global_store_short_d16_hi \base \src \src2 \md0 \md1 \md2
.endm

.macro _global_store_d16_u8 base src src2 md0 md1 md2
    global_store_ubyte_d16 \base \src \src2 \md0 \md1 \md2
.endm

.macro _global_store_d16_hi_u8 base src src2 md0 md1 md2
    global_store_ubyte_d16_hi \base \src \src2 \md0 \md1 \md2
.endm

.macro _global_store_u16 base src src2 md0 md1 md2
    global_store_ushort \base \src \src2 \md0 \md1 \md2
.endm

.macro _global_atomic_cmpswap_b32 tmp base data src ioffset md
    global_atomic_cmpswap \tmp \base \data \src \ioffset \md
.endm

.macro _global_atomic_cmpswap_b64 tmp base data src ioffset md
    global_atomic_cmpswap_x2 \tmp \base \data \src \ioffset \md
.endm


/******************************************/
/* Magic div and mod functions            */
/******************************************/
.macro V_MAGIC_DIV dstIdx:req, dividend:req, magicNumber:req, magicShift:req, magicA:req
    v_mul_hi_u32 v[\dstIdx+1], \dividend, \magicNumber
    v_mul_lo_u32 v[\dstIdx+0], \dividend, \magicA
    _v_add_u32 v[\dstIdx+0], v[\dstIdx+0], v[\dstIdx+1]
    v_lshrrev_b32 v[\dstIdx+0], \magicShift, v[\dstIdx+0]
.endm

/******************************************/
/* VGPR Assignments                       */
/******************************************/
/* ValuC range: [0-0), serializedStore enabled */
.set vgprValuC, 0
/* ValuA/B   Xn=PLR buffer idx,  In=InnerUnroll idx */
.set vgprValuA_X0_I0, 0
.set vgprValuA_X1_I0, 2
.set vgprValuA_X2_I0, 4
.set vgprValuA_X3_I0, 6
.set vgprG2LA, 14
.set vgprG2LB, 16
.set vgprG2LB0, 16
.set vgprG2LB1, 32
.set vgprLocalWriteAddrA, 8
.set vgprGlobalReadOffsetA, 9
.set vgprGlobalReadOffsetB, 10
.set vgprLocalReadAddrA, 48
.set vgprSerial, 49
/* Num VGPR=64 */
/* Num AccVGPR=32 */

/******************************************/
/* SGPR Assignments                       */
/******************************************/
.set sgprKernArgAddress, 0 // (2)
.set sgprWorkGroup0, 2 // (1)
.set sgprWorkGroup1, 3 // (1)
.set sgprWorkGroup2, 4 // (1)
.set sgprLoopCounterL, 5 // (1)
.set sgprOrigLoopCounter, 6 // (1)
.set sgprSrdA, 8 // (4)
.set sgprSrdB, 12 // (4)
.set sgprSrdD, 16 // (4)
.set sgprSrdC, 20 // (4)
.set sgprTensor2dSizeA, 24 // (2)
.set sgprTensor2dSizeB, 26 // (2)
.set sgprAddressD, 28 // (2)
.set sgprAddressC, 30 // (2)
.set sgprAddressA, 32 // (2)
.set sgprAddressB, 34 // (2)
.set sgprAlpha, 36 // (1)
.set sgprBeta, 37 // (1)
.set sgprStridesD, 38 // (2)
.set sgprStridesC, 40 // (2)
.set sgprStridesA, 42 // (2)
.set sgprStridesB, 44 // (2)
.set sgprSizesFree, 46 // (3)
.set sgprSizesSum, 49 // (1)
.set sgprOrigStaggerUIter, 50 // (1)
.set sgprNumWorkGroups0, 51 // (1)
.set sgprNumWorkGroups1, 52 // (1)
.set sgprShadowLimitA, 0 // (2)
.set sgprShadowLimitB, 28 // (2)
.set sgprStaggerUIter, 7 // (1)
.set sgprWrapUA, 30 // (2)
.set sgprWrapUB, 32 // (2)
.set sgprGlobalReadIncsA, 34 // (1)
.set sgprGlobalReadIncsB, 35 // (1)
/* max SGPR=60 */

/* Size Assignments */
.set sgprSizeI, sgprSizesFree+0
.set sgprSizeJ, sgprSizesFree+1
.set sgprSizeK, sgprSizesFree+2
.set sgprSizeL, sgprSizesSum+0

/* Stride Assignments */
.set constStrideD0I, 1
.set sgprStrideD1J, sgprStridesD+0
.set sgprStrideDK, sgprStridesD+1
.set constStrideC0I, 1
.set sgprStrideC1J, sgprStridesC+0
.set sgprStrideCK, sgprStridesC+1
.set constStrideA0I, 1
.set sgprStrideAL, sgprStridesA+0
.set sgprStrideAK, sgprStridesA+1
.set constStrideB1J, 1
.set sgprStrideBL, sgprStridesB+0
.set sgprStrideBK, sgprStridesB+1

.set MT0, 32
.set MT1, 256
.set DepthU, 16
.set GSU, 1
.set BpeA, 4
.set BpeALog2, 2
.set BpeB, 4
.set BpeBLog2, 2
/* Number of elements to shift-left SRD */
.set SrdShiftLeftA, 2
.set SrdShiftLeftB, 4
/* 2GB limit - set offsets to -1 to exceed this and clamp */
.set BufferLimitA, 0xffffffff
.set BufferLimitB, 0xffffffff
.set BufferOOB, 0xfffff000

/******************************************/
/* Bits 127:96 of SRD.                    */
/* hex: 0x00020000                        */
/* dst_sel_x (3b): 0                      */
/* dst_sel_y (3b): 0                      */
/* dst_sel_z (3b): 0                      */
/* dst_sel_w (3b): 0                      */
/* num_format (3b): 0                     */
/* data_format (4b): 4                    */
/* user_vm_enable (1b): 0                 */
/* user_vm_mode (1b): 0                   */
/* index_stride (2b): 0                   */
/* add_tid_enable (1b): 0                 */
/* _unusedA (3b): 0                       */
/* nv (1b): 0                             */
/* _unusedB (2b): 0                       */
/* type (2b): 0                           */
/******************************************/
.set Srd127_96, 0x00020000

/* Global Offset A */
.macro GLOBAL_OFFSET_A vgprAddr:req vgprOffset0I:req vgprOffsetL:req vgprTmp:req
v_mul_lo_u32 v[\vgprTmp+0], s[sgprStrideAL], v[\vgprOffsetL] // mul d1 lower
_v_add_co_u32 v[\vgprAddr+0], vcc, v[\vgprOffset0I], v[\vgprTmp+0] // accumulate K lower
_v_add_u32 v[\vgprAddr+0], 0x2, v[\vgprAddr+0]     // add prepad for pointer shift
v_lshlrev_b32 v[\vgprAddr+0], 0x2, v[\vgprAddr+0]  // offset *= bytes/element
.endm

/* Global Offset B */
.macro GLOBAL_OFFSET_B vgprAddr:req vgprOffset1J:req vgprOffsetL:req vgprTmp:req
v_mul_lo_u32 v[\vgprTmp+0], s[sgprStrideBL], v[\vgprOffsetL] // mul d1 lower
_v_add_co_u32 v[\vgprAddr+0], vcc, v[\vgprOffset1J], v[\vgprTmp+0] // accumulate K lower
_v_add_u32 v[\vgprAddr+0], 0x4, v[\vgprAddr+0]     // add prepad for pointer shift
v_lshlrev_b32 v[\vgprAddr+0], 0x2, v[\vgprAddr+0]  // offset *= bytes/element
.endm

/******************************************/
/* Dynamic Scalar Divide: vQuotient=vDividend/vDivisor; vRemainder=vDividend%vDivisor; */
/******************************************/
.macro DYNAMIC_VECTOR_DIVIDE vQuotient vRemainder vDividend vDivisor vTmp0 vTmp1 sTmp
v_cvt_f32_u32 v[\vQuotient], v[\vDivisor]          // 
v_rcp_f32 v[\vQuotient], v[\vQuotient]             // 
v_mul_f32 v[\vQuotient], 0x4f800000, v[\vQuotient] // 
v_cvt_u32_f32 v[\vQuotient], v[\vQuotient]         // 
v_mul_lo_u32 v[\vRemainder], v[\vDivisor], v[\vQuotient] // 
v_mul_hi_u32 v[\vTmp0], v[\vDivisor], v[\vQuotient] // 
_v_sub_co_u32 v[\vTmp1], vcc, 0x0, v[\vRemainder]  // 
v_cmp_ne_i32 s[\sTmp:\sTmp+1], 0x0, v[\vTmp0]      // 
v_cndmask_b32 v[\vRemainder], v[\vTmp1], v[\vRemainder], s[\sTmp:\sTmp+1] // 
v_mul_hi_u32 v[\vRemainder], v[\vRemainder], v[\vQuotient] // 
_v_sub_co_u32 v[\vTmp0], vcc, v[\vQuotient], v[\vRemainder] // 
_v_add_co_u32 v[\vQuotient], vcc, v[\vQuotient], v[\vRemainder] // 
v_cndmask_b32 v[\vQuotient], v[\vQuotient], v[\vTmp0], s[\sTmp:\sTmp+1] // 
v_mul_hi_u32 v[\vQuotient], v[\vQuotient], v[\vDividend] // 
v_mul_lo_u32 v[\vRemainder], v[\vQuotient], v[\vDivisor] // 
_v_sub_co_u32 v[\vTmp0], vcc, v[\vDividend], v[\vRemainder] // 
v_cmp_ge_u32 s[\sTmp:\sTmp+1], v[\vDividend], v[\vRemainder] // 
_v_add_co_u32 v[\vRemainder], vcc, 0x1, v[\vQuotient] // 
_v_add_co_u32 v[\vTmp1], vcc, -1, v[\vQuotient]    // 
v_cmp_le_u32 vcc, v[\vDivisor], v[\vTmp0]          // 
s_and_b64 vcc, s[\sTmp:\sTmp+1], vcc               // 
v_cndmask_b32 v[\vQuotient], v[\vQuotient], v[\vRemainder], vcc // 
v_cndmask_b32 v[\vQuotient], v[\vTmp1], v[\vQuotient], s[\sTmp:\sTmp+1] // 
v_cmp_ne_i32 vcc, 0x0, v[\vDivisor]                // 
v_cndmask_b32 v[\vQuotient], -1, v[\vQuotient], vcc // final result
v_mul_lo_u32 v[\vRemainder], v[\vQuotient], v[\vDivisor] // 
_v_sub_co_u32 v[\vRemainder], vcc, v[\vDividend], v[\vRemainder] // final result
.endm


	;; [unrolled: 1-line block ×3, first 2 shown]
/******************************************/
/* Allocate Resources                     */
/******************************************/

Cijk_Ailk_Bjlk_SB_MT32x256x16_MI16x16x4x1_SN_1LDSB1_APM1_AF0EM1_AF1EM1_AMAS0_ASGT211_ASLT033_333_ASEM1_BL1_BS1_CLR0_DTVA0_DTVB1_ETSP_EPS1_ELFLR0_EMLL0_FSSC10_FL0_GLVWA2_GLVWB4_GRCGA1_GRCGB1_GRVW4_GSU1_GSUASB_GLS0_IU1_K1_LBSPPA0_LBSPPB0_LPA16_LPB0_LRVW1_MIAV0_MKFGSU256_NTA0_NTB1_NTC0_NTD0_NEPBS0_NLCA1_NLCB1_ONLL1_PK0_PGR2_PLR5_PKA0_SIA3_SS0_SU32_SUM0_SUS256_SPO0_SRVW0_SSO0_SVW4_TSGRA0_TSGRB0_TT2_64_TLDS0_UMLDSA0_UMLDSB0_USFGROn1_VAW1_VSn1_VW1_VWB4_VFLRP0_WSGRA0_WSGRB0_WG16_16_1_WGM1_preloaded: // Kernel start when preloading

/* Load Kernel Args */
_s_load_b512 s[24:39], s[sgprKernArgAddress:sgprKernArgAddress+1], 0x0 // 
_s_load_b256 s[40:47], s[sgprKernArgAddress:sgprKernArgAddress+1], 0x40 // 
_s_load_b128 s[48:51], s[sgprKernArgAddress:sgprKernArgAddress+1], 0x60 // 
_s_load_b32 s52, s[sgprKernArgAddress:sgprKernArgAddress+1], 0x70 // 
s_mov_b32 m0, 0xc00                                // LDS clamp at 3072 bytes
v_mov_b32 v[vgprSerial], v0                        // thread serial id

/******************************************/
/* Local Read Addresses                   */
/******************************************/


/* local read addresses: tile assignments a/b */

/*lr0I*/
v_and_b32 v1, 63, v[vgprSerial]                    // 0. thread id in wave: wtid = tid % wavelength(64)
v_and_b32 v0, 15, v1                               // 1. N offset: nIdx = wtid % MI_N(16)
                                                   // 1. N offset: nOffset = nIdx * nStride(1) (multiplier is 1, do nothing)
                                                   // 2. block offset: bnIdx = bnIdx % num1DBlocks(1) is 0. do nothing
                                                   // 4. apply VectorWidth: bnOffset = bnOffset * vw(1) (multiplier is 1, do nothing)
v_lshrrev_b32 v1, 4, v1                            // 5. K offset: kIdx = wtid / (MIN(16) * MIBB(1))
s_mov_b32 s7, 0x30                                 // 5. K offset: lrKOffset = kIdx * mStride(48)
v_mul_lo_u32 v1, s7, v1                            // 5. K offset: lrKOffset = kIdx * mStride(48)
_v_add_u32 v0, v1, v0                              // 6. offset in wave: lrOffset = bnOffset + lrKOffset


/* local read addresses: final offsets a */

v_lshlrev_b32 v[vgprLocalReadAddrA], 0x2, v0       // Final Offset: offset = (lro0)*bpe


/* local read addresses: final offsets b */


	;; [unrolled: 1-line block ×3, first 2 shown]
/* local read addresses: declare addresses a */

/* N/A */


/* local read addresses: declare addresses b */


	;; [unrolled: 1-line block ×3, first 2 shown]
/* global read addresses: tile offset assignment a */

/* LVCA = 16 */
/* v0 = (local)groA-tile = serial%LVCA (note (wgA*MTA) will be added to SRD) */
/* v1 = groA-unroll = serial/LVCA */
v_lshrrev_b32 v1, 4, v[vgprSerial]                 // v1 = v[vgprSerial] / 16
v_and_b32 v0, 15, v[vgprSerial]                    // v0 = v[vgprSerial] % 16
/* gro-tile *= glvw */
v_lshlrev_b32 v0, 0x1, v0                          // v0 = v0 * 2


/* global read addresses: tile offset assignment b */

/* LVCB = 64 */
/* v2 = (local)groB-tile = serial%LVCB (note (wgB*MTB) will be added to SRD) */
/* v3 = groB-unroll = serial/LVCB */
v_and_b32 v3, 63, v[vgprSerial]                    // 0. thread id in wave: wtid = tid % wavelength(64)
v_and_b32 v2, 15, v3                               // 1. N offset: nIdx = wtid % MI_N(16)
                                                   // 1. N offset: nOffset = nIdx * nStride(1) (multiplier is 1, do nothing)
                                                   // 2. block offset: bnIdx = bnIdx % num1DBlocks(1) is 0. do nothing
                                                   // 4. apply VectorWidth: bnOffset = bnOffset * vw(1) (multiplier is 1, do nothing)
v_lshrrev_b32 v3, 4, v3                            // 5. K offset: kIdx = wtid / (MIN(16) * MIBB(1))
v_lshrrev_b32 v5, 6, v[vgprSerial]                 // v5 = v[vgprSerial] / 64
v_and_b32 v4, 3, v5                                // v4 = v5 % 4
v_lshlrev_b32 v4, 0x4, v4                          // v4 = v4 * 16
_v_add_u32 v2, v4, v2                              // 
                                                   // v3 = v3 * 1 (multiplier is 1, do nothing)
/* gro-tile *= glvw */
v_lshlrev_b32 v2, 0x2, v2                          // v2 = v2 * 4


/******************************************/
/* Local Write Addresses                  */
/******************************************/

/* lwaTileAssignmentA = v0 */

/* lwaTileAssignmentB = v2 */

/* lwaUnrollAssignmentA = v1 */

/* lwaUnrollAssignmentB = v3 */


/* local write addresses: first offset a */

v_mul_u32_u24 v[vgprLocalWriteAddrA], 0x30, v1     // lwAL**(MTA + PAD)
_v_add_lshl_u32 v[vgprLocalWriteAddrA], v0, v[vgprLocalWriteAddrA], 0x2 // lwFOA = (lwAA + lwAL*(MT0I+PAD))*bpe


/* local write addresses: first offset b */


	;; [unrolled: 1-line block ×8, first 2 shown]
s_waitcnt lgkmcnt(0)                               // wait for 116 bytes of kern args
s_mov_b64 s[sgprSrdC+0:sgprSrdC+0+1], s[sgprAddressC+0:sgprAddressC+0+1] // copy addressC
s_mov_b64 s[sgprSrdD+0:sgprSrdD+0+1], s[sgprAddressD+0:sgprAddressD+0+1] // copy addressD
s_sub_u32 s[sgprSrdA+0], s[sgprAddressA+0], 8      // pre-pad to make room for possible pointer shift
s_subb_u32 s[sgprSrdA+1], s[sgprAddressA+1], 0     // pre-pad to make room for possible pointer shift
s_sub_u32 s[sgprSrdB+0], s[sgprAddressB+0], 16     // pre-pad to make room for possible pointer shift
s_subb_u32 s[sgprSrdB+1], s[sgprAddressB+1], 0     // pre-pad to make room for possible pointer shift

.set AddressD, UNDEF
.set AddressC, UNDEF
.set AddressA, UNDEF
.set AddressB, UNDEF

/* Short circuit condition if Alpha == 0, then sumDims=0 */
v_cmp_eq_f32 vcc, s[sgprAlpha], 0.0                // Alpha == 0.0f ?
s_cbranch_vccz label_AlphaNonZero                  // branch if alpha != 0
s_mov_b32 s[sgprSizesSum+0], 0x0                   // Set summation dim=0 if Alpha == 0
label_AlphaNonZero:



/******************************************/
/* Begin setupNewTile, isPap=False           */
/******************************************/


/* global read addresses: work-group */

/* graWorkGroup mapping */


/* global read addresses: unroll assignment a */

/* v1 */


/* global read addresses: unroll assignment b */

/* v3 */


/* global read addresses: other free assignments */

/* s[sgprWorkGroup2] */


/* global read addresses: tile offsets a */

v_mov_b32 v4, v0                                   // groA0I_0


/* global read addresses: tile offsets b */

v_mov_b32 v5, v2                                   // groB1J_0


/* global read addresses: unroll offsets a */

v_mov_b32 v6, v1                                   // groAL_0


/* global read addresses: unroll offsets b */

v_mov_b32 v50, v3                                  // groBL_0
_v_add_co_u32 v51, vcc, 4, v50                     // groBL_1 + LSPB
_v_add_co_u32 v52, vcc, 4, v51                     // groBL_2 + LSPB
_v_add_co_u32 v53, vcc, 4, v52                     // groBL_3 + LSPB


/* global read addresses: shift a */

s_mul_i32 s53, s[sgprWorkGroup0], 32               // WorkGroup[01] * MT
s_sub_u32 s53, s[sgprSizeI], s53                   // edge = Size0I - WG*MT
s_sub_u32 s53, s53, 2                              // edge -= margin(2)
v_mov_b32 v7, s53                                  // edge vgpr = Size0I- WG*MT - margin(2)
v_min_i32 v4, v7, v4                               // offset = (offset < edge) ? offset(v4) : edge(v7)


/* global read addresses: shift b */

s_mul_i32 s53, s[sgprWorkGroup1], 256              // WorkGroup[01] * MT
s_sub_u32 s53, s[sgprSizeJ], s53                   // edge = Size1J - WG*MT
s_sub_u32 s53, s53, 4                              // edge -= margin(4)
v_mov_b32 v7, s53                                  // edge vgpr = Size1J- WG*MT - margin(4)
v_min_i32 v5, v7, v5                               // offset = (offset < edge) ? offset(v5) : edge(v7)


/* global read addresses: final offsets a */

GLOBAL_OFFSET_A vgprGlobalReadOffsetA+0,  4,  6, 54 // gROA_0_0_0_0


/* global read addresses: final offsets b */

GLOBAL_OFFSET_B vgprGlobalReadOffsetB+0,  5, 50, 54 // gROB_0_0_0_0
GLOBAL_OFFSET_B vgprGlobalReadOffsetB+1,  5, 51, 54 // gROB_0_0_1_0
GLOBAL_OFFSET_B vgprGlobalReadOffsetB+2,  5, 52, 54 // gROB_0_0_2_0
GLOBAL_OFFSET_B vgprGlobalReadOffsetB+3,  5, 53, 54 // gROB_0_0_3_0


/* global read addresses: addresses a */

/* max read offset = size[n] * stride[n-1] */
s_mul_hi_u32 s59, s[sgprWorkGroup0], 32            // WorkGroup[01] * MT
s_mul_i32 s58, s[sgprWorkGroup0], 32               // WorkGroup[01] * MT
s_sub_u32 s[sgprShadowLimitA+0], s[sgprTensor2dSizeA], s58 // sub tileStart
s_subb_u32 s[sgprShadowLimitA+1], s[sgprTensor2dSizeA+1], s59 // sub tileStart
s_lshl_b64 s[sgprShadowLimitA:sgprShadowLimitA+1], s[sgprShadowLimitA:sgprShadowLimitA+1], 0x2 // Set limit to use bytes
s_add_u32 s[sgprShadowLimitA+0], s[sgprShadowLimitA+0], 8 // extend limit for pre-pad
s_addc_u32 s[sgprShadowLimitA+1], s[sgprShadowLimitA+1], 0 // extend limit for pre-pad
s_cmp_eq_u32 s[sgprShadowLimitA+1], 0              // are we within 2^32?
s_cselect_b32 s[sgprSrdA+2], s[sgprShadowLimitA+0], BufferLimitA // Move shadow to real if we are within 2^32
s_mul_hi_u32 s57, s[sgprStrideAK], s[sgprWorkGroup2] // Stride*WG
s_mul_i32 s56, s[sgprStrideAK], s[sgprWorkGroup2]  // Stride*WG
s_add_u32 s58, s58, s56                            // accum wg term to tilestart
s_addc_u32 s59, s59, s57                           // accum wg term to tilestart
s_lshl_b64 s[58:59], s[58:59], 0x2                 // tileStart *= BPE
s_add_u32 s[sgprSrdA+0], s[sgprSrdA+0], s58        // SRD base = Address+ tileStart0
s_addc_u32 s[sgprSrdA+1], s[sgprSrdA+1], s59       // SRD base = Address+ tileStart1
s_mov_b32 s[sgprSrdA+3], Srd127_96                 // Set bits 127_96 in SRD


/* global read addresses: addresses b */

/* max read offset = size[n] * stride[n-1] */
s_mul_hi_u32 s59, s[sgprWorkGroup1], 256           // WorkGroup[01] * MT
s_mul_i32 s58, s[sgprWorkGroup1], 256              // WorkGroup[01] * MT
s_sub_u32 s[sgprShadowLimitB+0], s[sgprTensor2dSizeB], s58 // sub tileStart
s_subb_u32 s[sgprShadowLimitB+1], s[sgprTensor2dSizeB+1], s59 // sub tileStart
s_lshl_b64 s[sgprShadowLimitB:sgprShadowLimitB+1], s[sgprShadowLimitB:sgprShadowLimitB+1], 0x2 // Set limit to use bytes
s_add_u32 s[sgprShadowLimitB+0], s[sgprShadowLimitB+0], 16 // extend limit for pre-pad
s_addc_u32 s[sgprShadowLimitB+1], s[sgprShadowLimitB+1], 0 // extend limit for pre-pad
s_cmp_eq_u32 s[sgprShadowLimitB+1], 0              // are we within 2^32?
s_cselect_b32 s[sgprSrdB+2], s[sgprShadowLimitB+0], BufferLimitB // Move shadow to real if we are within 2^32
s_mul_hi_u32 s57, s[sgprStrideBK], s[sgprWorkGroup2] // Stride*WG
s_mul_i32 s56, s[sgprStrideBK], s[sgprWorkGroup2]  // Stride*WG
s_add_u32 s58, s58, s56                            // accum wg term to tilestart
s_addc_u32 s59, s59, s57                           // accum wg term to tilestart
s_lshl_b64 s[58:59], s[58:59], 0x2                 // tileStart *= BPE
s_add_u32 s[sgprSrdB+0], s[sgprSrdB+0], s58        // SRD base = Address+ tileStart0
s_addc_u32 s[sgprSrdB+1], s[sgprSrdB+1], s59       // SRD base = Address+ tileStart1
s_mov_b32 s[sgprSrdB+3], Srd127_96                 // Set bits 127_96 in SRD


/* global read addresses: increments a */

s_mul_i32 s[sgprGlobalReadIncsA+0], DepthU*BpeA, s[sgprStrideAL] // incrA unrollIdx)


/* global read addresses: increments b */

s_mul_i32 s[sgprGlobalReadIncsB+0], DepthU*BpeB, s[sgprStrideBL] // incrB unrollIdx)

/* declare loop num iterations */


s_lshr_b32 s[sgprLoopCounterL], s[sgprSizesSum+0], 4 // s[sgprLoopCounterL] = s[sgprSizesSum+0] / 16
s_mov_b32 s[sgprOrigLoopCounter], s[sgprLoopCounterL] // copy loop counter

s_and_b32 s[sgprStaggerUIter], s[sgprOrigStaggerUIter], s[sgprWorkGroup0] // Compute actual stagger start for this tile
s_lshl_b32 s[sgprStaggerUIter], s[sgprStaggerUIter], 2 // shift by StaggerUStride


/* SRDs += (StaggerUIter) * GlobalReadIncsA+0 */
s_mul_hi_u32 s57, s[sgprStaggerUIter], s[sgprGlobalReadIncsA+0] //  stagger byte offset
s_mul_i32 s56, s[sgprStaggerUIter], s[sgprGlobalReadIncsA+0] //  stagger byte offset
s_mul_hi_u32 s[sgprWrapUA+1], s[sgprLoopCounterL], s[sgprGlobalReadIncsA+0] // Number of bytes accessed by the unroll loop
s_mul_i32 s[sgprWrapUA+0], s[sgprLoopCounterL], s[sgprGlobalReadIncsA+0] // Number of bytes accessed by the unroll loop
s_sub_u32 s[sgprWrapUA+0], s[sgprGlobalReadIncsA+0], s[sgprWrapUA+0] // remove one iteration
s_subb_u32 s[sgprWrapUA+1], 0, s[sgprWrapUA+1]     // remove one iteration
s_add_u32 s[sgprSrdA+0], s[sgprSrdA+0], s56        // gra SRD += inc(lower)
s_addc_u32  s[sgprSrdA+1], s[sgprSrdA+1], s57      // gra SRD += inc(upper)
s_sub_u32 s[sgprShadowLimitA+0], s[sgprShadowLimitA+0], s56 // limit -= inc)
s_subb_u32 s[sgprShadowLimitA+1], s[sgprShadowLimitA+1], s57 // limit -= inc)
s_cmp_eq_u32 s[sgprShadowLimitA+1], 0              // are we within 2^32?
s_cselect_b32 s[sgprSrdA+2], s[sgprShadowLimitA+0], BufferLimitA // Move shadow to real if we are within 2^32


/* SRDs += (StaggerUIter) * GlobalReadIncsB+0 */
s_mul_hi_u32 s57, s[sgprStaggerUIter], s[sgprGlobalReadIncsB+0] //  stagger byte offset
s_mul_i32 s56, s[sgprStaggerUIter], s[sgprGlobalReadIncsB+0] //  stagger byte offset
s_mul_hi_u32 s[sgprWrapUB+1], s[sgprLoopCounterL], s[sgprGlobalReadIncsB+0] // Number of bytes accessed by the unroll loop
s_mul_i32 s[sgprWrapUB+0], s[sgprLoopCounterL], s[sgprGlobalReadIncsB+0] // Number of bytes accessed by the unroll loop
s_sub_u32 s[sgprWrapUB+0], s[sgprGlobalReadIncsB+0], s[sgprWrapUB+0] // remove one iteration
s_subb_u32 s[sgprWrapUB+1], 0, s[sgprWrapUB+1]     // remove one iteration
s_add_u32 s[sgprSrdB+0], s[sgprSrdB+0], s56        // gra SRD += inc(lower)
s_addc_u32  s[sgprSrdB+1], s[sgprSrdB+1], s57      // gra SRD += inc(upper)
s_sub_u32 s[sgprShadowLimitB+0], s[sgprShadowLimitB+0], s56 // limit -= inc)
s_subb_u32 s[sgprShadowLimitB+1], s[sgprShadowLimitB+1], s57 // limit -= inc)
s_cmp_eq_u32 s[sgprShadowLimitB+1], 0              // are we within 2^32?
s_cselect_b32 s[sgprSrdB+2], s[sgprShadowLimitB+0], BufferLimitB // Move shadow to real if we are within 2^32
s_add_u32 s[sgprStaggerUIter], s[sgprStaggerUIter], 2 // Subtract (PGR-1); StaggerUIter now contains target iteration to wrap

/* local read addresses: init pointers a */


/* localReadInitPointers */

/* local read addresses: init pointers b */


	;; [unrolled: 1-line block ×3, first 2 shown]
/* prefetch: global -> local */

s_cmp_eq_u32 s[sgprLoopCounterL], 0                // at last iteration?
s_cbranch_scc1 ShadowInitStart_10                  // skip to ShadowInitStart iter b/c numIter==0


_buffer_load_b64 v[vgprG2LA+0:vgprG2LA+0+1], v[vgprGlobalReadOffsetA+0], s[sgprSrdA:sgprSrdA+3], 0, offen offset:0 // G -> Reg 0_0_0_0


_buffer_load_b128 v[vgprG2LB0+0:vgprG2LB0+0+3], v[vgprGlobalReadOffsetB+0], s[sgprSrdB:sgprSrdB+3], 0, offen offset:0,  sc0 // G -> Reg 0_0_0_0
_buffer_load_b128 v[vgprG2LB0+4:vgprG2LB0+4+3], v[vgprGlobalReadOffsetB+1], s[sgprSrdB:sgprSrdB+3], 0, offen offset:0,  sc0 // G -> Reg 0_0_1_0
_buffer_load_b128 v[vgprG2LB0+8:vgprG2LB0+8+3], v[vgprGlobalReadOffsetB+2], s[sgprSrdB:sgprSrdB+3], 0, offen offset:0,  sc0 // G -> Reg 0_0_2_0
_buffer_load_b128 v[vgprG2LB0+12:vgprG2LB0+12+3], v[vgprGlobalReadOffsetB+3], s[sgprSrdB:sgprSrdB+3], 0, offen offset:0,  sc0 // G -> Reg 0_0_3_0


/* global read inc A loopL */
s_add_u32 s58, s[sgprLoopCounterL], 1              // remove pf(1)
s_cmp_eq_u32 s[sgprStaggerUIter], s58              // Is this wrapIter? (pf)
s_cselect_b32 s56, s[sgprWrapUA+0], s[sgprGlobalReadIncsA+0] // incLower <- ?
s_cselect_b32 s57, s[sgprWrapUA+1], 0              // incUpper <- ?
s_add_u32 s[sgprSrdA+0], s[sgprSrdA+0], s56        // gra SRD += inc(lower)
s_addc_u32  s[sgprSrdA+1], s[sgprSrdA+1], s57      // gra SRD += inc(upper)
s_sub_u32 s[sgprShadowLimitA+0], s[sgprShadowLimitA+0], s56 // limit -= inc)
s_subb_u32 s[sgprShadowLimitA+1], s[sgprShadowLimitA+1], s57 // limit -= inc)
s_cmp_eq_u32 s[sgprShadowLimitA+1], 0              // are we within 2^32?
s_cselect_b32 s[sgprSrdA+2], s[sgprShadowLimitA+0], BufferLimitA // Move shadow to real if we are within 2^32

/* global read inc B loopL */
s_add_u32 s58, s[sgprLoopCounterL], 1              // remove pf(1)
s_cmp_eq_u32 s[sgprStaggerUIter], s58              // Is this wrapIter? (pf)
s_cselect_b32 s56, s[sgprWrapUB+0], s[sgprGlobalReadIncsB+0] // incLower <- ?
s_cselect_b32 s57, s[sgprWrapUB+1], 0              // incUpper <- ?
s_add_u32 s[sgprSrdB+0], s[sgprSrdB+0], s56        // gra SRD += inc(lower)
s_addc_u32  s[sgprSrdB+1], s[sgprSrdB+1], s57      // gra SRD += inc(upper)
s_sub_u32 s[sgprShadowLimitB+0], s[sgprShadowLimitB+0], s56 // limit -= inc)
s_subb_u32 s[sgprShadowLimitB+1], s[sgprShadowLimitB+1], s57 // limit -= inc)
s_cmp_eq_u32 s[sgprShadowLimitB+1], 0              // are we within 2^32?
s_cselect_b32 s[sgprSrdB+2], s[sgprShadowLimitB+0], BufferLimitB // Move shadow to real if we are within 2^32


/******************************************/
/* End setupNewTile, isPap=False             */
/******************************************/

ShadowInitStart_10: // 

s_mov_b32 s[sgprSrdD+2], BufferOOB                 // 
s_mov_b32 s[sgprSrdD+3], Srd127_96                 // Set bits 127_96 in post-loop SRD

s_mov_b32 s[sgprSrdC+2], BufferOOB                 // 
s_mov_b32 s[sgprSrdC+3], Srd127_96                 // Set bits 127_96 in post-loop SRD


s_mul_i32 s56, MT1, s[sgprWorkGroup1]              // <- wg1*MT1
s_mul_hi_u32 s55, s56, s[sgprStrideC1J]            // CScale s56 by Stride
s_mul_i32 s54, s56, s[sgprStrideC1J]               // CScale s56 by Stride
s_lshl_b64 s[54:55], s[54:55], 2                   // scale by bpe
s_add_u32 s[sgprSrdC+0], s[sgprSrdC+0], s54        // add lo to SRD
s_addc_u32 s[sgprSrdC+1], s[sgprSrdC+1], s55       // add hi to SRD
s_mul_hi_u32 s55, s56, s[sgprStrideD1J]            // Scale s56 by Stride
s_mul_i32 s54, s56, s[sgprStrideD1J]               // Scale s56 by Stride
s_lshl_b64 s[54:55], s[54:55], 2                   // scale by bpe
s_add_u32 s[sgprSrdD+0], s[sgprSrdD+0], s54        // add lo to SRD
s_addc_u32 s[sgprSrdD+1], s[sgprSrdD+1], s55       // add hi to SRD

s_mul_hi_u32 s55, s[sgprWorkGroup2], s[sgprStrideCK] // CScale s[sgprWorkGroup2] by Stride
s_mul_i32 s54, s[sgprWorkGroup2], s[sgprStrideCK]  // CScale s[sgprWorkGroup2] by Stride
s_lshl_b64 s[54:55], s[54:55], 2                   // scale by bpe
s_add_u32 s[sgprSrdC+0], s[sgprSrdC+0], s54        // add lo to SRD
s_addc_u32 s[sgprSrdC+1], s[sgprSrdC+1], s55       // add hi to SRD
s_mul_hi_u32 s55, s[sgprWorkGroup2], s[sgprStrideDK] // Scale s[sgprWorkGroup2] by Stride
s_mul_i32 s54, s[sgprWorkGroup2], s[sgprStrideDK]  // Scale s[sgprWorkGroup2] by Stride
s_lshl_b64 s[54:55], s[54:55], 2                   // scale by bpe
s_add_u32 s[sgprSrdD+0], s[sgprSrdD+0], s54        // add lo to SRD
s_addc_u32 s[sgprSrdD+1], s[sgprSrdD+1], s55       // add hi to SRD


	;; [unrolled: 1-line block ×3, first 2 shown]
/* initC: remove C-tile 0-0 from pool */

/* initC: remove AB-tile 0-8 from pool */
v_accvgpr_write acc0, 0x0                          // initC
v_accvgpr_write acc1, 0x0                          // initC
v_accvgpr_write acc2, 0x0                          // initC
v_accvgpr_write acc3, 0x0                          // initC
v_accvgpr_write acc4, 0x0                          // initC
v_accvgpr_write acc5, 0x0                          // initC
v_accvgpr_write acc6, 0x0                          // initC
v_accvgpr_write acc7, 0x0                          // initC
v_accvgpr_write acc8, 0x0                          // initC
v_accvgpr_write acc9, 0x0                          // initC
v_accvgpr_write acc10, 0x0                         // initC
v_accvgpr_write acc11, 0x0                         // initC
v_accvgpr_write acc12, 0x0                         // initC
v_accvgpr_write acc13, 0x0                         // initC
v_accvgpr_write acc14, 0x0                         // initC
v_accvgpr_write acc15, 0x0                         // initC
v_accvgpr_write acc16, 0x0                         // initC
v_accvgpr_write acc17, 0x0                         // initC
v_accvgpr_write acc18, 0x0                         // initC
v_accvgpr_write acc19, 0x0                         // initC
v_accvgpr_write acc20, 0x0                         // initC
v_accvgpr_write acc21, 0x0                         // initC
v_accvgpr_write acc22, 0x0                         // initC
v_accvgpr_write acc23, 0x0                         // initC
v_accvgpr_write acc24, 0x0                         // initC
v_accvgpr_write acc25, 0x0                         // initC
v_accvgpr_write acc26, 0x0                         // initC
v_accvgpr_write acc27, 0x0                         // initC
v_accvgpr_write acc28, 0x0                         // initC
v_accvgpr_write acc29, 0x0                         // initC
v_accvgpr_write acc30, 0x0                         // initC
v_accvgpr_write acc31, 0x0                         // initC

s_cmp_eq_u32 s[sgprLoopCounterL], 0                // at last iteration?

/* after InitC, skip to end of prefetch last iter if numIter==0 */
s_cbranch_scc0 label_NoBranch_11                   // Only branch on scc1
s_getpc_B64 s[54:55]                               // addr of next instr
s_add_i32 s56, PrefetchGlobalLastIterEnd_5, 0x4    // target branch offset
s_add_u32 s54, s54, s56                            // add target branch offset
s_addc_u32 s55, s55, 0                             // add high and carry
s_setpc_b64 s[54:55]                               // branch to PrefetchGlobalLastIterEnd_5
label_NoBranch_11:

s_waitcnt vmcnt(4)                                 // lgkmcnt=-1 vmcnt=4 8wait for global read


/* local write a */
_ds_store_b64 v[vgprLocalWriteAddrA], v[vgprG2LA+0:vgprG2LA+0+1] offset:0 // lwoA_0_0_0_0 = (0*LSCA) + (0*LSPA)(*MT0I+PAD) = 0

/* local write b */


/* local write swap a */


	;; [unrolled: 1-line block ×3, first 2 shown]
/* local write swap b */


	;; [unrolled: 1-line block ×4, first 2 shown]
s_cmp_eq_u32 s[sgprLoopCounterL] 0x1               // PGR=2 but only 1 loop
s_cbranch_scc1 label_0012                          // PGR=2 but only 1 loop


_buffer_load_b64 v[vgprG2LA+0:vgprG2LA+0+1], v[vgprGlobalReadOffsetA+0], s[sgprSrdA:sgprSrdA+3], 0, offen offset:0 // G -> Reg 0_0_0_0


_buffer_load_b128 v[vgprG2LB1+0:vgprG2LB1+0+3], v[vgprGlobalReadOffsetB+0], s[sgprSrdB:sgprSrdB+3], 0, offen offset:0,  sc0 // G -> Reg 0_0_0_0
_buffer_load_b128 v[vgprG2LB1+4:vgprG2LB1+4+3], v[vgprGlobalReadOffsetB+1], s[sgprSrdB:sgprSrdB+3], 0, offen offset:0,  sc0 // G -> Reg 0_0_1_0
_buffer_load_b128 v[vgprG2LB1+8:vgprG2LB1+8+3], v[vgprGlobalReadOffsetB+2], s[sgprSrdB:sgprSrdB+3], 0, offen offset:0,  sc0 // G -> Reg 0_0_2_0
_buffer_load_b128 v[vgprG2LB1+12:vgprG2LB1+12+3], v[vgprGlobalReadOffsetB+3], s[sgprSrdB:sgprSrdB+3], 0, offen offset:0,  sc0 // G -> Reg 0_0_3_0

label_0012:                                        // 

s_waitcnt lgkmcnt(0)                               // lgkmcnt=0 vmcnt=-10prefetch wait for local write

// Skip force waitcnt0
s_barrier //


/* local read prefetch a */

_ds_load_b32 v[vgprValuA_X0_I0+0], v[vgprLocalReadAddrA] offset:0 // L -> Reg lro=0 swapByteOffset=0 ti=16 vIdx=0 rIdx=0 oIdx=0 buffer=0 iui=0
_ds_load_b32 v[vgprValuA_X0_I0+1], v[vgprLocalReadAddrA] offset:64 // L -> Reg lro=0 swapByteOffset=0 ti=16 vIdx=1 rIdx=0 oIdx=0 buffer=0 iui=0


/* local read prefetch b */


	;; [unrolled: 1-line block ×3, first 2 shown]
/* local read inc a */

/* N/A, lro->192 */
/* self.localReadDoCntA 1 self.localReadDoCntB 1 */


/* local read inc b */


	;; [unrolled: 1-line block ×4, first 2 shown]
/******************************************/
/* Unrolled Loop(s) - Begin               */
/******************************************/

openLoopL_13:
s_cmp_eq_u32 s[sgprLoopCounterL], 0x1              // LoopCounterL < EndCounter
s_cbranch_scc1 label_0014                          // PGR=2 but only 1 loop, toPGR1
s_cmp_le_u32 s[sgprLoopCounterL], 0x2              // LoopCounterL < EndCounter
s_cbranch_scc1 LoopEndL_evenexit_4                 // do not enter LoopL
LoopBeginL_1:


/******************************************/
/* Unrolled Loop 1/2 - Begin              */
/******************************************/

label_0015: // LoopCopy1 


/* Begin Each Unroll: Check VGPR.checkin for INT8 LW */


	;; [unrolled: 1-line block ×3, first 2 shown]
/* iter 0 */

s_waitcnt vmcnt(8)                                 // lgkmcnt=-1 vmcnt=8global read wait for DirectToVgpr

/*  grEndMfmaIndex:6, lwStartMfmaIndex:21, lwEndMfmaIndex:22  */
/*  numMfmaForLR:7, barrierMfmaIndex:24, LocalWritePerMfma:0.500 */
/*  mfmaIndex:0  */
s_waitcnt lgkmcnt(0)                               // lgkmcnt=0 vmcnt=-1wait for prior local read local write old=0, new=0 newLW=0 newLR=0
v_mfma_f32_16x16x4_f32 a[0+0:3+0], v[vgprValuA_X0_I0+0+0+0], v[vgprG2LB+0+0], a[0:3]
/*  mfmaIndex:1  */
_ds_load_b32 v[vgprValuA_X1_I0+0], v[vgprLocalReadAddrA] offset:768 // L -> Reg lro=192 swapByteOffset=0 ti=16 vIdx=0 rIdx=0 oIdx=0 buffer=1 iui=0
_ds_load_b32 v[vgprValuA_X1_I0+1], v[vgprLocalReadAddrA] offset:832 // L -> Reg lro=192 swapByteOffset=0 ti=16 vIdx=1 rIdx=0 oIdx=0 buffer=1 iui=0
/* localReadsVacancy: latencyLeft 1 */

/* global read inc A loopL */
s_cmp_eq_u32 s[sgprLoopCounterL], s[sgprStaggerUIter] // Is this the wrapIter?
s_cselect_b32 s54, s[sgprWrapUA+0], s[sgprGlobalReadIncsA+0] // incLower <- ?
s_cselect_b32 s55, s[sgprWrapUA+1], 0              // incUpper <- ?
v_mfma_f32_16x16x4_f32 a[4+0:7+0], v[vgprValuA_X0_I0+1+0+0], v[vgprG2LB+0+0], a[4:7]
/*  mfmaIndex:2  */
/* localReadsVacancy: latencyLeft 5 */
_ds_load_b32 v[vgprValuA_X2_I0+0], v[vgprLocalReadAddrA] offset:1536 // L -> Reg lro=384 swapByteOffset=0 ti=16 vIdx=0 rIdx=0 oIdx=0 buffer=2 iui=0
_ds_load_b32 v[vgprValuA_X2_I0+1], v[vgprLocalReadAddrA] offset:1600 // L -> Reg lro=384 swapByteOffset=0 ti=16 vIdx=1 rIdx=0 oIdx=0 buffer=2 iui=0
s_add_u32 s[sgprSrdA+0], s[sgprSrdA+0], s54        // gra SRD += inc(lower)
s_addc_u32  s[sgprSrdA+1], s[sgprSrdA+1], s55      // gra SRD += inc(upper)
s_sub_u32 s[sgprShadowLimitA+0], s[sgprShadowLimitA+0], s54 // limit -= inc)
v_mfma_f32_16x16x4_f32 a[12+0:15+0], v[vgprValuA_X0_I0+1+0+0], v[vgprG2LB+1+0], a[12:15]
/*  mfmaIndex:3  */
/* localReadsVacancy: latencyLeft 5 */
_ds_load_b32 v[vgprValuA_X3_I0+0], v[vgprLocalReadAddrA] offset:2304 // L -> Reg lro=576 swapByteOffset=0 ti=16 vIdx=0 rIdx=0 oIdx=0 buffer=3 iui=0
_ds_load_b32 v[vgprValuA_X3_I0+1], v[vgprLocalReadAddrA] offset:2368 // L -> Reg lro=576 swapByteOffset=0 ti=16 vIdx=1 rIdx=0 oIdx=0 buffer=3 iui=0
s_subb_u32 s[sgprShadowLimitA+1], s[sgprShadowLimitA+1], s55 // limit -= inc)
s_cmp_eq_u32 s[sgprShadowLimitA+1], 0              // are we within 2^32?
s_cselect_b32 s[sgprSrdA+2], s[sgprShadowLimitA+0], BufferLimitA // Move shadow to real if we are within 2^32
v_mfma_f32_16x16x4_f32 a[8+0:11+0], v[vgprValuA_X0_I0+0+0+0], v[vgprG2LB+1+0], a[8:11]
/*  mfmaIndex:4  */
/* localReadsVacancy: latencyLeft 5 */

/* global read inc B loopL */
s_cmp_eq_u32 s[sgprLoopCounterL], s[sgprStaggerUIter] // Is this the wrapIter?
s_cselect_b32 s54, s[sgprWrapUB+0], s[sgprGlobalReadIncsB+0] // incLower <- ?
s_cselect_b32 s55, s[sgprWrapUB+1], 0              // incUpper <- ?
v_mfma_f32_16x16x4_f32 a[16+0:19+0], v[vgprValuA_X0_I0+0+0+0], v[vgprG2LB+2+0], a[16:19]
/*  mfmaIndex:5  */
/* localReadsVacancy: latencyLeft 5 */
s_add_u32 s[sgprSrdB+0], s[sgprSrdB+0], s54        // gra SRD += inc(lower)
s_addc_u32  s[sgprSrdB+1], s[sgprSrdB+1], s55      // gra SRD += inc(upper)
s_sub_u32 s[sgprShadowLimitB+0], s[sgprShadowLimitB+0], s54 // limit -= inc)
v_mfma_f32_16x16x4_f32 a[20+0:23+0], v[vgprValuA_X0_I0+1+0+0], v[vgprG2LB+2+0], a[20:23]
/*  mfmaIndex:6  */
/* localReadsVacancy: latencyLeft 5 */
s_subb_u32 s[sgprShadowLimitB+1], s[sgprShadowLimitB+1], s55 // limit -= inc)
s_cmp_eq_u32 s[sgprShadowLimitB+1], 0              // are we within 2^32?
s_cselect_b32 s[sgprSrdB+2], s[sgprShadowLimitB+0], BufferLimitB // Move shadow to real if we are within 2^32
v_mfma_f32_16x16x4_f32 a[28+0:31+0], v[vgprValuA_X0_I0+1+0+0], v[vgprG2LB+3+0], a[28:31]
/*  mfmaIndex:7  */
/* localReadsVacancy: latencyLeft 5 */
v_mfma_f32_16x16x4_f32 a[24+0:27+0], v[vgprValuA_X0_I0+0+0+0], v[vgprG2LB+3+0], a[24:27]
/* numPrefetchIter=0 */
/* dataAtIterA=-1 numReadsIterA=1 skipReadsIterA=1 readsPerIterA=2 */
/* dataAtIterB=-1 numReadsIterB=1 skipReadsIterB=1 readsPerIterB=4 */


/* iter 1 */

s_waitcnt vmcnt(7)                                 // lgkmcnt=-1 vmcnt=7global read wait for DirectToVgpr

/*  grEndMfmaIndex:6, lwStartMfmaIndex:21, lwEndMfmaIndex:22  */
/*  numMfmaForLR:7, barrierMfmaIndex:24, LocalWritePerMfma:0.500 */
/*  mfmaIndex:8  */
/* localReadsVacancy: latencyLeft 5 */
s_waitcnt lgkmcnt(4)                               // lgkmcnt=0 vmcnt=-1wait for prior local read local write old=2, new=2 newLW=0 newLR=0
v_mfma_f32_16x16x4_f32 a[0+0:3+0], v[vgprValuA_X1_I0+0+0+0], v[vgprG2LB+4+0], a[0:3]
/*  mfmaIndex:9  */
/* localReadsVacancy: latencyLeft 5 */
v_mfma_f32_16x16x4_f32 a[4+0:7+0], v[vgprValuA_X1_I0+1+0+0], v[vgprG2LB+4+0], a[4:7]
/*  mfmaIndex:10  */
/* localReadsVacancy: latencyLeft 5 */
	;; [unrolled: 3-line block ×7, first 2 shown]
v_mfma_f32_16x16x4_f32 a[24+0:27+0], v[vgprValuA_X1_I0+0+0+0], v[vgprG2LB+7+0], a[24:27]
/* numPrefetchIter=0 */
/* dataAtIterA=0 numReadsIterA=2 skipReadsIterA=1 readsPerIterA=2 */
/* dataAtIterB=0 numReadsIterB=2 skipReadsIterB=1 readsPerIterB=4 */


/* iter 2 (reset local read pointers iteration)  (swap and reset local write pointers iteration)  (swap local read pointers iteration)  */

s_waitcnt vmcnt(6)                                 // lgkmcnt=-1 vmcnt=6global read wait for DirectToVgpr

/*  grEndMfmaIndex:6, lwStartMfmaIndex:21, lwEndMfmaIndex:22  */
/*  numMfmaForLR:7, barrierMfmaIndex:24, LocalWritePerMfma:0.500 */
/*  mfmaIndex:16  */
/* localReadsVacancy: latencyLeft 5 */
s_waitcnt lgkmcnt(0)                               // lgkmcnt=0 vmcnt=-1wait for prior local read local write old=0, new=0 newLW=0 newLR=0
v_mfma_f32_16x16x4_f32 a[0+0:3+0], v[vgprValuA_X2_I0+0+0+0], v[vgprG2LB+8+0], a[0:3]
/*  mfmaIndex:17  */
/* localReadsVacancy: latencyLeft 5 */
v_mfma_f32_16x16x4_f32 a[4+0:7+0], v[vgprValuA_X2_I0+1+0+0], v[vgprG2LB+8+0], a[4:7]
/*  mfmaIndex:18  */
/* localReadsVacancy: latencyLeft 5 */
	;; [unrolled: 3-line block ×4, first 2 shown]
/* 1 LDS buffer: read-sync-write */
s_waitcnt lgkmcnt(0)                               // 
s_barrier                                          // 
v_mfma_f32_16x16x4_f32 a[16+0:19+0], v[vgprValuA_X2_I0+0+0+0], v[vgprG2LB+10+0], a[16:19]
/*  mfmaIndex:21  */
/* sched write - iter 2 writesPerItem=1 */
s_waitcnt vmcnt(0)                                 // lgkmcnt=-1 vmcnt=0wait for global read before writing to local
_ds_store_b64 v[vgprLocalWriteAddrA], v[vgprG2LA+0:vgprG2LA+0+1] offset:0 // lwoA_0_0_0_0 = (0*LSCA) + (0*LSPA)(*MT0I+PAD) = 0
v_mfma_f32_16x16x4_f32 a[20+0:23+0], v[vgprValuA_X2_I0+1+0+0], v[vgprG2LB+10+0], a[20:23]
/*  mfmaIndex:22  */
_buffer_load_b64 v[vgprG2LA+0:vgprG2LA+0+1], v[vgprGlobalReadOffsetA+0], s[sgprSrdA:sgprSrdA+3], 0, offen offset:0 // G -> Reg 0_0_0_0

/* local write swap offsets a */

/* local write swap offsets b */
v_mfma_f32_16x16x4_f32 a[28+0:31+0], v[vgprValuA_X2_I0+1+0+0], v[vgprG2LB+11+0], a[28:31]
/*  mfmaIndex:23  */

/* local read swap offsets a */

/* local read swap offsets b */

/* local read init pointers a */

/* localReadInitPointers */

/* local read init pointers b */
v_mfma_f32_16x16x4_f32 a[24+0:27+0], v[vgprValuA_X2_I0+0+0+0], v[vgprG2LB+11+0], a[24:27]
/* numPrefetchIter=0 */
/* dataAtIterA=1 numReadsIterA=3 skipReadsIterA=1 readsPerIterA=2 */
/* dataAtIterB=1 numReadsIterB=3 skipReadsIterB=1 readsPerIterB=4 */


/* iter 3 */

/*  grEndMfmaIndex:6, lwStartMfmaIndex:21, lwEndMfmaIndex:22  */
/*  numMfmaForLR:7, barrierMfmaIndex:24, LocalWritePerMfma:0.500 */
/*  mfmaIndex:24  */
s_waitcnt lgkmcnt(0)                               // lgkmcnt=0 vmcnt=-13wait for local write
s_barrier
v_mfma_f32_16x16x4_f32 a[0+0:3+0], v[vgprValuA_X3_I0+0+0+0], v[vgprG2LB+12+0], a[0:3]
/*  mfmaIndex:25  */
_ds_load_b32 v[vgprValuA_X0_I0+0], v[vgprLocalReadAddrA] offset:0 // L -> Reg lro=0 swapByteOffset=0 ti=16 vIdx=0 rIdx=0 oIdx=0 buffer=0 iui=0
_ds_load_b32 v[vgprValuA_X0_I0+1], v[vgprLocalReadAddrA] offset:64 // L -> Reg lro=0 swapByteOffset=0 ti=16 vIdx=1 rIdx=0 oIdx=0 buffer=0 iui=0
v_mfma_f32_16x16x4_f32 a[4+0:7+0], v[vgprValuA_X3_I0+1+0+0], v[vgprG2LB+12+0], a[4:7]
_buffer_load_b128 v[vgprG2LB0+0:vgprG2LB0+0+3], v[vgprGlobalReadOffsetB+0], s[sgprSrdB:sgprSrdB+3], 0, offen offset:0,  sc0 // G -> Reg 0_0_0_0
/*  mfmaIndex:26  */
v_mfma_f32_16x16x4_f32 a[8+0:11+0], v[vgprValuA_X3_I0+0+0+0], v[vgprG2LB+13+0], a[8:11]
/*  mfmaIndex:27  */
v_mfma_f32_16x16x4_f32 a[12+0:15+0], v[vgprValuA_X3_I0+1+0+0], v[vgprG2LB+13+0], a[12:15]
_buffer_load_b128 v[vgprG2LB0+4:vgprG2LB0+4+3], v[vgprGlobalReadOffsetB+1], s[sgprSrdB:sgprSrdB+3], 0, offen offset:0,  sc0 // G -> Reg 0_0_1_0
/*  mfmaIndex:28  */
v_mfma_f32_16x16x4_f32 a[16+0:19+0], v[vgprValuA_X3_I0+0+0+0], v[vgprG2LB+14+0], a[16:19]
/*  mfmaIndex:29  */
v_mfma_f32_16x16x4_f32 a[20+0:23+0], v[vgprValuA_X3_I0+1+0+0], v[vgprG2LB+14+0], a[20:23]
_buffer_load_b128 v[vgprG2LB0+8:vgprG2LB0+8+3], v[vgprGlobalReadOffsetB+2], s[sgprSrdB:sgprSrdB+3], 0, offen offset:0,  sc0 // G -> Reg 0_0_2_0
/*  mfmaIndex:30  */
v_mfma_f32_16x16x4_f32 a[24+0:27+0], v[vgprValuA_X3_I0+0+0+0], v[vgprG2LB+15+0], a[24:27]
/*  mfmaIndex:31  */
v_mfma_f32_16x16x4_f32 a[28+0:31+0], v[vgprValuA_X3_I0+1+0+0], v[vgprG2LB+15+0], a[28:31]
_buffer_load_b128 v[vgprG2LB0+12:vgprG2LB0+12+3], v[vgprGlobalReadOffsetB+3], s[sgprSrdB:sgprSrdB+3], 0, offen offset:0,  sc0 // G -> Reg 0_0_3_0


/******************************************/
/* Unrolled Loop - End 1/2                */
/******************************************/


/* closeLoop loopL finalLoop=0 tailLoop=0 */
s_sub_u32 s[sgprLoopCounterL], s[sgprLoopCounterL], 1 // dec counterL
s_cmp_eq_i32 s[sgprLoopCounterL], 0x2              // counterL==2
s_cbranch_scc1 LoopEndL_oddexit_3                  // exit LoopL


/******************************************/
/* Unrolled Loop 2/2 - Begin              */
/******************************************/

label_0016: // LoopCopy2 


/* Begin Each Unroll: Check VGPR.checkin for INT8 LW */


	;; [unrolled: 1-line block ×3, first 2 shown]
/* iter 0 */

s_waitcnt vmcnt(8)                                 // lgkmcnt=-1 vmcnt=8global read wait for DirectToVgpr

/*  grEndMfmaIndex:6, lwStartMfmaIndex:21, lwEndMfmaIndex:22  */
/*  numMfmaForLR:7, barrierMfmaIndex:24, LocalWritePerMfma:0.500 */
/*  mfmaIndex:0  */
s_waitcnt lgkmcnt(0)                               // lgkmcnt=0 vmcnt=-1wait for prior local read local write old=0, new=0 newLW=0 newLR=0
v_mfma_f32_16x16x4_f32 a[0+0:3+0], v[vgprValuA_X0_I0+0+0+0], v[vgprG2LB+16+0], a[0:3]
/*  mfmaIndex:1  */
_ds_load_b32 v[vgprValuA_X1_I0+0], v[vgprLocalReadAddrA] offset:768 // L -> Reg lro=192 swapByteOffset=0 ti=16 vIdx=0 rIdx=0 oIdx=0 buffer=1 iui=0
_ds_load_b32 v[vgprValuA_X1_I0+1], v[vgprLocalReadAddrA] offset:832 // L -> Reg lro=192 swapByteOffset=0 ti=16 vIdx=1 rIdx=0 oIdx=0 buffer=1 iui=0
/* localReadsVacancy: latencyLeft 1 */

/* global read inc A loopL */
s_cmp_eq_u32 s[sgprLoopCounterL], s[sgprStaggerUIter] // Is this the wrapIter?
s_cselect_b32 s54, s[sgprWrapUA+0], s[sgprGlobalReadIncsA+0] // incLower <- ?
s_cselect_b32 s55, s[sgprWrapUA+1], 0              // incUpper <- ?
v_mfma_f32_16x16x4_f32 a[4+0:7+0], v[vgprValuA_X0_I0+1+0+0], v[vgprG2LB+16+0], a[4:7]
/*  mfmaIndex:2  */
/* localReadsVacancy: latencyLeft 5 */
_ds_load_b32 v[vgprValuA_X2_I0+0], v[vgprLocalReadAddrA] offset:1536 // L -> Reg lro=384 swapByteOffset=0 ti=16 vIdx=0 rIdx=0 oIdx=0 buffer=2 iui=0
_ds_load_b32 v[vgprValuA_X2_I0+1], v[vgprLocalReadAddrA] offset:1600 // L -> Reg lro=384 swapByteOffset=0 ti=16 vIdx=1 rIdx=0 oIdx=0 buffer=2 iui=0
s_add_u32 s[sgprSrdA+0], s[sgprSrdA+0], s54        // gra SRD += inc(lower)
s_addc_u32  s[sgprSrdA+1], s[sgprSrdA+1], s55      // gra SRD += inc(upper)
s_sub_u32 s[sgprShadowLimitA+0], s[sgprShadowLimitA+0], s54 // limit -= inc)
v_mfma_f32_16x16x4_f32 a[12+0:15+0], v[vgprValuA_X0_I0+1+0+0], v[vgprG2LB+17+0], a[12:15]
/*  mfmaIndex:3  */
/* localReadsVacancy: latencyLeft 5 */
_ds_load_b32 v[vgprValuA_X3_I0+0], v[vgprLocalReadAddrA] offset:2304 // L -> Reg lro=576 swapByteOffset=0 ti=16 vIdx=0 rIdx=0 oIdx=0 buffer=3 iui=0
_ds_load_b32 v[vgprValuA_X3_I0+1], v[vgprLocalReadAddrA] offset:2368 // L -> Reg lro=576 swapByteOffset=0 ti=16 vIdx=1 rIdx=0 oIdx=0 buffer=3 iui=0
s_subb_u32 s[sgprShadowLimitA+1], s[sgprShadowLimitA+1], s55 // limit -= inc)
s_cmp_eq_u32 s[sgprShadowLimitA+1], 0              // are we within 2^32?
s_cselect_b32 s[sgprSrdA+2], s[sgprShadowLimitA+0], BufferLimitA // Move shadow to real if we are within 2^32
v_mfma_f32_16x16x4_f32 a[8+0:11+0], v[vgprValuA_X0_I0+0+0+0], v[vgprG2LB+17+0], a[8:11]
/*  mfmaIndex:4  */
/* localReadsVacancy: latencyLeft 5 */

/* global read inc B loopL */
s_cmp_eq_u32 s[sgprLoopCounterL], s[sgprStaggerUIter] // Is this the wrapIter?
s_cselect_b32 s54, s[sgprWrapUB+0], s[sgprGlobalReadIncsB+0] // incLower <- ?
s_cselect_b32 s55, s[sgprWrapUB+1], 0              // incUpper <- ?
v_mfma_f32_16x16x4_f32 a[16+0:19+0], v[vgprValuA_X0_I0+0+0+0], v[vgprG2LB+18+0], a[16:19]
/*  mfmaIndex:5  */
/* localReadsVacancy: latencyLeft 5 */
s_add_u32 s[sgprSrdB+0], s[sgprSrdB+0], s54        // gra SRD += inc(lower)
s_addc_u32  s[sgprSrdB+1], s[sgprSrdB+1], s55      // gra SRD += inc(upper)
s_sub_u32 s[sgprShadowLimitB+0], s[sgprShadowLimitB+0], s54 // limit -= inc)
v_mfma_f32_16x16x4_f32 a[20+0:23+0], v[vgprValuA_X0_I0+1+0+0], v[vgprG2LB+18+0], a[20:23]
/*  mfmaIndex:6  */
/* localReadsVacancy: latencyLeft 5 */
s_subb_u32 s[sgprShadowLimitB+1], s[sgprShadowLimitB+1], s55 // limit -= inc)
s_cmp_eq_u32 s[sgprShadowLimitB+1], 0              // are we within 2^32?
s_cselect_b32 s[sgprSrdB+2], s[sgprShadowLimitB+0], BufferLimitB // Move shadow to real if we are within 2^32
v_mfma_f32_16x16x4_f32 a[28+0:31+0], v[vgprValuA_X0_I0+1+0+0], v[vgprG2LB+19+0], a[28:31]
/*  mfmaIndex:7  */
/* localReadsVacancy: latencyLeft 5 */
v_mfma_f32_16x16x4_f32 a[24+0:27+0], v[vgprValuA_X0_I0+0+0+0], v[vgprG2LB+19+0], a[24:27]
/* numPrefetchIter=0 */
/* dataAtIterA=-1 numReadsIterA=1 skipReadsIterA=1 readsPerIterA=2 */
/* dataAtIterB=-1 numReadsIterB=1 skipReadsIterB=1 readsPerIterB=4 */


/* iter 1 */

s_waitcnt vmcnt(7)                                 // lgkmcnt=-1 vmcnt=7global read wait for DirectToVgpr

/*  grEndMfmaIndex:6, lwStartMfmaIndex:21, lwEndMfmaIndex:22  */
/*  numMfmaForLR:7, barrierMfmaIndex:24, LocalWritePerMfma:0.500 */
/*  mfmaIndex:8  */
/* localReadsVacancy: latencyLeft 5 */
s_waitcnt lgkmcnt(4)                               // lgkmcnt=0 vmcnt=-1wait for prior local read local write old=2, new=2 newLW=0 newLR=0
v_mfma_f32_16x16x4_f32 a[0+0:3+0], v[vgprValuA_X1_I0+0+0+0], v[vgprG2LB+20+0], a[0:3]
/*  mfmaIndex:9  */
/* localReadsVacancy: latencyLeft 5 */
v_mfma_f32_16x16x4_f32 a[4+0:7+0], v[vgprValuA_X1_I0+1+0+0], v[vgprG2LB+20+0], a[4:7]
/*  mfmaIndex:10  */
/* localReadsVacancy: latencyLeft 5 */
	;; [unrolled: 3-line block ×7, first 2 shown]
v_mfma_f32_16x16x4_f32 a[24+0:27+0], v[vgprValuA_X1_I0+0+0+0], v[vgprG2LB+23+0], a[24:27]
/* numPrefetchIter=0 */
/* dataAtIterA=0 numReadsIterA=2 skipReadsIterA=1 readsPerIterA=2 */
/* dataAtIterB=0 numReadsIterB=2 skipReadsIterB=1 readsPerIterB=4 */


/* iter 2 (reset local read pointers iteration)  (swap and reset local write pointers iteration)  (swap local read pointers iteration)  */

s_waitcnt vmcnt(6)                                 // lgkmcnt=-1 vmcnt=6global read wait for DirectToVgpr

/*  grEndMfmaIndex:6, lwStartMfmaIndex:21, lwEndMfmaIndex:22  */
/*  numMfmaForLR:7, barrierMfmaIndex:24, LocalWritePerMfma:0.500 */
/*  mfmaIndex:16  */
/* localReadsVacancy: latencyLeft 5 */
s_waitcnt lgkmcnt(0)                               // lgkmcnt=0 vmcnt=-1wait for prior local read local write old=0, new=0 newLW=0 newLR=0
v_mfma_f32_16x16x4_f32 a[0+0:3+0], v[vgprValuA_X2_I0+0+0+0], v[vgprG2LB+24+0], a[0:3]
/*  mfmaIndex:17  */
/* localReadsVacancy: latencyLeft 5 */
v_mfma_f32_16x16x4_f32 a[4+0:7+0], v[vgprValuA_X2_I0+1+0+0], v[vgprG2LB+24+0], a[4:7]
/*  mfmaIndex:18  */
/* localReadsVacancy: latencyLeft 5 */
	;; [unrolled: 3-line block ×4, first 2 shown]
/* 1 LDS buffer: read-sync-write */
s_waitcnt lgkmcnt(0)                               // 
s_barrier                                          // 
v_mfma_f32_16x16x4_f32 a[16+0:19+0], v[vgprValuA_X2_I0+0+0+0], v[vgprG2LB+26+0], a[16:19]
/*  mfmaIndex:21  */
/* sched write - iter 2 writesPerItem=1 */
s_waitcnt vmcnt(0)                                 // lgkmcnt=-1 vmcnt=0wait for global read before writing to local
_ds_store_b64 v[vgprLocalWriteAddrA], v[vgprG2LA+0:vgprG2LA+0+1] offset:0 // lwoA_0_0_0_0 = (0*LSCA) + (0*LSPA)(*MT0I+PAD) = 0
v_mfma_f32_16x16x4_f32 a[20+0:23+0], v[vgprValuA_X2_I0+1+0+0], v[vgprG2LB+26+0], a[20:23]
/*  mfmaIndex:22  */
_buffer_load_b64 v[vgprG2LA+0:vgprG2LA+0+1], v[vgprGlobalReadOffsetA+0], s[sgprSrdA:sgprSrdA+3], 0, offen offset:0 // G -> Reg 0_0_0_0

/* local write swap offsets a */

/* local write swap offsets b */
v_mfma_f32_16x16x4_f32 a[28+0:31+0], v[vgprValuA_X2_I0+1+0+0], v[vgprG2LB+27+0], a[28:31]
/*  mfmaIndex:23  */

/* local read swap offsets a */

/* local read swap offsets b */

/* local read init pointers a */

/* localReadInitPointers */

/* local read init pointers b */
v_mfma_f32_16x16x4_f32 a[24+0:27+0], v[vgprValuA_X2_I0+0+0+0], v[vgprG2LB+27+0], a[24:27]
/* numPrefetchIter=0 */
/* dataAtIterA=1 numReadsIterA=3 skipReadsIterA=1 readsPerIterA=2 */
/* dataAtIterB=1 numReadsIterB=3 skipReadsIterB=1 readsPerIterB=4 */


/* iter 3 */

/*  grEndMfmaIndex:6, lwStartMfmaIndex:21, lwEndMfmaIndex:22  */
/*  numMfmaForLR:7, barrierMfmaIndex:24, LocalWritePerMfma:0.500 */
/*  mfmaIndex:24  */
s_waitcnt lgkmcnt(0)                               // lgkmcnt=0 vmcnt=-13wait for local write
s_barrier
v_mfma_f32_16x16x4_f32 a[0+0:3+0], v[vgprValuA_X3_I0+0+0+0], v[vgprG2LB+28+0], a[0:3]
/*  mfmaIndex:25  */
_ds_load_b32 v[vgprValuA_X0_I0+0], v[vgprLocalReadAddrA] offset:0 // L -> Reg lro=0 swapByteOffset=0 ti=16 vIdx=0 rIdx=0 oIdx=0 buffer=0 iui=0
_ds_load_b32 v[vgprValuA_X0_I0+1], v[vgprLocalReadAddrA] offset:64 // L -> Reg lro=0 swapByteOffset=0 ti=16 vIdx=1 rIdx=0 oIdx=0 buffer=0 iui=0
v_mfma_f32_16x16x4_f32 a[4+0:7+0], v[vgprValuA_X3_I0+1+0+0], v[vgprG2LB+28+0], a[4:7]
_buffer_load_b128 v[vgprG2LB1+0:vgprG2LB1+0+3], v[vgprGlobalReadOffsetB+0], s[sgprSrdB:sgprSrdB+3], 0, offen offset:0,  sc0 // G -> Reg 0_0_0_0
/*  mfmaIndex:26  */
v_mfma_f32_16x16x4_f32 a[8+0:11+0], v[vgprValuA_X3_I0+0+0+0], v[vgprG2LB+29+0], a[8:11]
/*  mfmaIndex:27  */
v_mfma_f32_16x16x4_f32 a[12+0:15+0], v[vgprValuA_X3_I0+1+0+0], v[vgprG2LB+29+0], a[12:15]
_buffer_load_b128 v[vgprG2LB1+4:vgprG2LB1+4+3], v[vgprGlobalReadOffsetB+1], s[sgprSrdB:sgprSrdB+3], 0, offen offset:0,  sc0 // G -> Reg 0_0_1_0
/*  mfmaIndex:28  */
v_mfma_f32_16x16x4_f32 a[16+0:19+0], v[vgprValuA_X3_I0+0+0+0], v[vgprG2LB+30+0], a[16:19]
/*  mfmaIndex:29  */
v_mfma_f32_16x16x4_f32 a[20+0:23+0], v[vgprValuA_X3_I0+1+0+0], v[vgprG2LB+30+0], a[20:23]
_buffer_load_b128 v[vgprG2LB1+8:vgprG2LB1+8+3], v[vgprGlobalReadOffsetB+2], s[sgprSrdB:sgprSrdB+3], 0, offen offset:0,  sc0 // G -> Reg 0_0_2_0
/*  mfmaIndex:30  */
v_mfma_f32_16x16x4_f32 a[24+0:27+0], v[vgprValuA_X3_I0+0+0+0], v[vgprG2LB+31+0], a[24:27]
/*  mfmaIndex:31  */
v_mfma_f32_16x16x4_f32 a[28+0:31+0], v[vgprValuA_X3_I0+1+0+0], v[vgprG2LB+31+0], a[28:31]
_buffer_load_b128 v[vgprG2LB1+12:vgprG2LB1+12+3], v[vgprGlobalReadOffsetB+3], s[sgprSrdB:sgprSrdB+3], 0, offen offset:0,  sc0 // G -> Reg 0_0_3_0


/******************************************/
/* Unrolled Loop - End 2/2 (final)        */
/******************************************/


/* closeLoop loopL finalLoop=1 tailLoop=0 */
s_sub_u32 s[sgprLoopCounterL], s[sgprLoopCounterL], 1 // dec counterL
s_cmp_eq_i32 s[sgprLoopCounterL], 0x2              // counterL==2
s_cbranch_scc0 LoopBeginL_1                        // restart LoopL
LoopEndL_evenexit_4: // unroll loop eveniter exit
s_branch LoopEndL_2                                // exit unroll loopL (and skip second exit code)
LoopEndL_oddexit_3: // unroll loop odditer exit

/* Select high bank of LDS */
LoopEndL_2:


/* Before NLL: Check VGPR.checkin for INT8 LW */


/******************************************/
/* Ord. NoGlobalLoadLoop - Begin                                      */
/******************************************/


s_and_b32 s53, s[sgprOrigLoopCounter], 1           // test if OrigLoopCounter is Odd ?
s_cbranch_scc0 label_0017                          // Skip odd code if OrigLoopCounter is Even


/* iter 0 */

s_waitcnt vmcnt(8)                                 // lgkmcnt=-1 vmcnt=8global read wait for DirectToVgpr

/*  grEndMfmaIndex:6, lwStartMfmaIndex:21, lwEndMfmaIndex:22  */
/*  numMfmaForLR:7, barrierMfmaIndex:24, LocalWritePerMfma:0.500 */
/*  mfmaIndex:0  */
s_waitcnt lgkmcnt(0)                               // lgkmcnt=0 vmcnt=-1wait for prior local read local write old=0, new=0 newLW=0 newLR=0
v_mfma_f32_16x16x4_f32 a[0+0:3+0], v[vgprValuA_X0_I0+0+0+0], v[vgprG2LB+16+0], a[0:3]
/*  mfmaIndex:1  */
_ds_load_b32 v[vgprValuA_X1_I0+0], v[vgprLocalReadAddrA] offset:768 // L -> Reg lro=192 swapByteOffset=0 ti=16 vIdx=0 rIdx=0 oIdx=0 buffer=1 iui=0
_ds_load_b32 v[vgprValuA_X1_I0+1], v[vgprLocalReadAddrA] offset:832 // L -> Reg lro=192 swapByteOffset=0 ti=16 vIdx=1 rIdx=0 oIdx=0 buffer=1 iui=0
/* localReadsVacancy: latencyLeft 1 */

/* global read inc A loopL */
s_cmp_eq_u32 s[sgprLoopCounterL], s[sgprStaggerUIter] // Is this the wrapIter?
s_cselect_b32 s54, s[sgprWrapUA+0], s[sgprGlobalReadIncsA+0] // incLower <- ?
s_cselect_b32 s55, s[sgprWrapUA+1], 0              // incUpper <- ?
v_mfma_f32_16x16x4_f32 a[4+0:7+0], v[vgprValuA_X0_I0+1+0+0], v[vgprG2LB+16+0], a[4:7]
/*  mfmaIndex:2  */
/* localReadsVacancy: latencyLeft 5 */
_ds_load_b32 v[vgprValuA_X2_I0+0], v[vgprLocalReadAddrA] offset:1536 // L -> Reg lro=384 swapByteOffset=0 ti=16 vIdx=0 rIdx=0 oIdx=0 buffer=2 iui=0
_ds_load_b32 v[vgprValuA_X2_I0+1], v[vgprLocalReadAddrA] offset:1600 // L -> Reg lro=384 swapByteOffset=0 ti=16 vIdx=1 rIdx=0 oIdx=0 buffer=2 iui=0
s_add_u32 s[sgprSrdA+0], s[sgprSrdA+0], s54        // gra SRD += inc(lower)
s_addc_u32  s[sgprSrdA+1], s[sgprSrdA+1], s55      // gra SRD += inc(upper)
s_sub_u32 s[sgprShadowLimitA+0], s[sgprShadowLimitA+0], s54 // limit -= inc)
v_mfma_f32_16x16x4_f32 a[12+0:15+0], v[vgprValuA_X0_I0+1+0+0], v[vgprG2LB+17+0], a[12:15]
/*  mfmaIndex:3  */
/* localReadsVacancy: latencyLeft 5 */
_ds_load_b32 v[vgprValuA_X3_I0+0], v[vgprLocalReadAddrA] offset:2304 // L -> Reg lro=576 swapByteOffset=0 ti=16 vIdx=0 rIdx=0 oIdx=0 buffer=3 iui=0
_ds_load_b32 v[vgprValuA_X3_I0+1], v[vgprLocalReadAddrA] offset:2368 // L -> Reg lro=576 swapByteOffset=0 ti=16 vIdx=1 rIdx=0 oIdx=0 buffer=3 iui=0
s_subb_u32 s[sgprShadowLimitA+1], s[sgprShadowLimitA+1], s55 // limit -= inc)
s_cmp_eq_u32 s[sgprShadowLimitA+1], 0              // are we within 2^32?
s_cselect_b32 s[sgprSrdA+2], s[sgprShadowLimitA+0], BufferLimitA // Move shadow to real if we are within 2^32
v_mfma_f32_16x16x4_f32 a[8+0:11+0], v[vgprValuA_X0_I0+0+0+0], v[vgprG2LB+17+0], a[8:11]
/*  mfmaIndex:4  */
/* localReadsVacancy: latencyLeft 5 */

/* global read inc B loopL */
s_cmp_eq_u32 s[sgprLoopCounterL], s[sgprStaggerUIter] // Is this the wrapIter?
s_cselect_b32 s54, s[sgprWrapUB+0], s[sgprGlobalReadIncsB+0] // incLower <- ?
s_cselect_b32 s55, s[sgprWrapUB+1], 0              // incUpper <- ?
v_mfma_f32_16x16x4_f32 a[16+0:19+0], v[vgprValuA_X0_I0+0+0+0], v[vgprG2LB+18+0], a[16:19]
/*  mfmaIndex:5  */
/* localReadsVacancy: latencyLeft 5 */
s_add_u32 s[sgprSrdB+0], s[sgprSrdB+0], s54        // gra SRD += inc(lower)
s_addc_u32  s[sgprSrdB+1], s[sgprSrdB+1], s55      // gra SRD += inc(upper)
s_sub_u32 s[sgprShadowLimitB+0], s[sgprShadowLimitB+0], s54 // limit -= inc)
v_mfma_f32_16x16x4_f32 a[20+0:23+0], v[vgprValuA_X0_I0+1+0+0], v[vgprG2LB+18+0], a[20:23]
/*  mfmaIndex:6  */
/* localReadsVacancy: latencyLeft 5 */
s_subb_u32 s[sgprShadowLimitB+1], s[sgprShadowLimitB+1], s55 // limit -= inc)
s_cmp_eq_u32 s[sgprShadowLimitB+1], 0              // are we within 2^32?
s_cselect_b32 s[sgprSrdB+2], s[sgprShadowLimitB+0], BufferLimitB // Move shadow to real if we are within 2^32
v_mfma_f32_16x16x4_f32 a[28+0:31+0], v[vgprValuA_X0_I0+1+0+0], v[vgprG2LB+19+0], a[28:31]
/*  mfmaIndex:7  */
/* localReadsVacancy: latencyLeft 5 */
v_mfma_f32_16x16x4_f32 a[24+0:27+0], v[vgprValuA_X0_I0+0+0+0], v[vgprG2LB+19+0], a[24:27]
/* numPrefetchIter=0 */
/* dataAtIterA=-1 numReadsIterA=1 skipReadsIterA=1 readsPerIterA=2 */
/* dataAtIterB=-1 numReadsIterB=1 skipReadsIterB=1 readsPerIterB=4 */


/* iter 1 */

s_waitcnt vmcnt(7)                                 // lgkmcnt=-1 vmcnt=7global read wait for DirectToVgpr

/*  grEndMfmaIndex:6, lwStartMfmaIndex:21, lwEndMfmaIndex:22  */
/*  numMfmaForLR:7, barrierMfmaIndex:24, LocalWritePerMfma:0.500 */
/*  mfmaIndex:8  */
/* localReadsVacancy: latencyLeft 5 */
s_waitcnt lgkmcnt(4)                               // lgkmcnt=0 vmcnt=-1wait for prior local read local write old=2, new=2 newLW=0 newLR=0
v_mfma_f32_16x16x4_f32 a[0+0:3+0], v[vgprValuA_X1_I0+0+0+0], v[vgprG2LB+20+0], a[0:3]
/*  mfmaIndex:9  */
/* localReadsVacancy: latencyLeft 5 */
v_mfma_f32_16x16x4_f32 a[4+0:7+0], v[vgprValuA_X1_I0+1+0+0], v[vgprG2LB+20+0], a[4:7]
/*  mfmaIndex:10  */
/* localReadsVacancy: latencyLeft 5 */
v_mfma_f32_16x16x4_f32 a[12+0:15+0], v[vgprValuA_X1_I0+1+0+0], v[vgprG2LB+21+0], a[12:15]
/*  mfmaIndex:11  */
/* localReadsVacancy: latencyLeft 5 */
v_mfma_f32_16x16x4_f32 a[8+0:11+0], v[vgprValuA_X1_I0+0+0+0], v[vgprG2LB+21+0], a[8:11]
/*  mfmaIndex:12  */
/* localReadsVacancy: latencyLeft 5 */
v_mfma_f32_16x16x4_f32 a[16+0:19+0], v[vgprValuA_X1_I0+0+0+0], v[vgprG2LB+22+0], a[16:19]
/*  mfmaIndex:13  */
/* localReadsVacancy: latencyLeft 5 */
v_mfma_f32_16x16x4_f32 a[20+0:23+0], v[vgprValuA_X1_I0+1+0+0], v[vgprG2LB+22+0], a[20:23]
/*  mfmaIndex:14  */
/* localReadsVacancy: latencyLeft 5 */
v_mfma_f32_16x16x4_f32 a[28+0:31+0], v[vgprValuA_X1_I0+1+0+0], v[vgprG2LB+23+0], a[28:31]
/*  mfmaIndex:15  */
/* localReadsVacancy: latencyLeft 5 */
v_mfma_f32_16x16x4_f32 a[24+0:27+0], v[vgprValuA_X1_I0+0+0+0], v[vgprG2LB+23+0], a[24:27]
/* numPrefetchIter=0 */
/* dataAtIterA=0 numReadsIterA=2 skipReadsIterA=1 readsPerIterA=2 */
/* dataAtIterB=0 numReadsIterB=2 skipReadsIterB=1 readsPerIterB=4 */


/* iter 2 (reset local read pointers iteration)  (swap and reset local write pointers iteration)  (swap local read pointers iteration)  */

s_waitcnt vmcnt(6)                                 // lgkmcnt=-1 vmcnt=6global read wait for DirectToVgpr

/*  grEndMfmaIndex:6, lwStartMfmaIndex:21, lwEndMfmaIndex:22  */
/*  numMfmaForLR:7, barrierMfmaIndex:24, LocalWritePerMfma:0.500 */
/*  mfmaIndex:16  */
/* localReadsVacancy: latencyLeft 5 */
s_waitcnt lgkmcnt(0)                               // lgkmcnt=0 vmcnt=-1wait for prior local read local write old=0, new=0 newLW=0 newLR=0
v_mfma_f32_16x16x4_f32 a[0+0:3+0], v[vgprValuA_X2_I0+0+0+0], v[vgprG2LB+24+0], a[0:3]
/*  mfmaIndex:17  */
/* localReadsVacancy: latencyLeft 5 */
v_mfma_f32_16x16x4_f32 a[4+0:7+0], v[vgprValuA_X2_I0+1+0+0], v[vgprG2LB+24+0], a[4:7]
/*  mfmaIndex:18  */
/* localReadsVacancy: latencyLeft 5 */
	;; [unrolled: 3-line block ×4, first 2 shown]
/* 1 LDS buffer: read-sync-write */
s_waitcnt lgkmcnt(0)                               // 
s_barrier                                          // 
v_mfma_f32_16x16x4_f32 a[16+0:19+0], v[vgprValuA_X2_I0+0+0+0], v[vgprG2LB+26+0], a[16:19]
/*  mfmaIndex:21  */
/* sched write - iter 2 writesPerItem=1 */
s_waitcnt vmcnt(0)                                 // lgkmcnt=-1 vmcnt=0wait for global read before writing to local
_ds_store_b64 v[vgprLocalWriteAddrA], v[vgprG2LA+0:vgprG2LA+0+1] offset:0 // lwoA_0_0_0_0 = (0*LSCA) + (0*LSPA)(*MT0I+PAD) = 0
v_mfma_f32_16x16x4_f32 a[20+0:23+0], v[vgprValuA_X2_I0+1+0+0], v[vgprG2LB+26+0], a[20:23]
/*  mfmaIndex:22  */

/* local write swap offsets a */

/* local write swap offsets b */
v_mfma_f32_16x16x4_f32 a[28+0:31+0], v[vgprValuA_X2_I0+1+0+0], v[vgprG2LB+27+0], a[28:31]
/*  mfmaIndex:23  */

/* local read swap offsets a */

/* local read swap offsets b */

/* local read init pointers a */

/* localReadInitPointers */

/* local read init pointers b */
v_mfma_f32_16x16x4_f32 a[24+0:27+0], v[vgprValuA_X2_I0+0+0+0], v[vgprG2LB+27+0], a[24:27]
/* numPrefetchIter=0 */
/* dataAtIterA=1 numReadsIterA=3 skipReadsIterA=1 readsPerIterA=2 */
/* dataAtIterB=1 numReadsIterB=3 skipReadsIterB=1 readsPerIterB=4 */


/* iter 3 */

/*  grEndMfmaIndex:6, lwStartMfmaIndex:21, lwEndMfmaIndex:22  */
/*  numMfmaForLR:7, barrierMfmaIndex:24, LocalWritePerMfma:0.500 */
/*  mfmaIndex:24  */
s_waitcnt lgkmcnt(0)                               // lgkmcnt=0 vmcnt=-13wait for local write
// Skip force waitcnt0
s_barrier //
v_mfma_f32_16x16x4_f32 a[0+0:3+0], v[vgprValuA_X3_I0+0+0+0], v[vgprG2LB+28+0], a[0:3]
/*  mfmaIndex:25  */
_ds_load_b32 v[vgprValuA_X0_I0+0], v[vgprLocalReadAddrA] offset:0 // L -> Reg lro=0 swapByteOffset=0 ti=16 vIdx=0 rIdx=0 oIdx=0 buffer=0 iui=0
_ds_load_b32 v[vgprValuA_X0_I0+1], v[vgprLocalReadAddrA] offset:64 // L -> Reg lro=0 swapByteOffset=0 ti=16 vIdx=1 rIdx=0 oIdx=0 buffer=0 iui=0
v_mfma_f32_16x16x4_f32 a[4+0:7+0], v[vgprValuA_X3_I0+1+0+0], v[vgprG2LB+28+0], a[4:7]
/*  mfmaIndex:26  */
v_mfma_f32_16x16x4_f32 a[8+0:11+0], v[vgprValuA_X3_I0+0+0+0], v[vgprG2LB+29+0], a[8:11]
/*  mfmaIndex:27  */
v_mfma_f32_16x16x4_f32 a[12+0:15+0], v[vgprValuA_X3_I0+1+0+0], v[vgprG2LB+29+0], a[12:15]
/*  mfmaIndex:28  */
v_mfma_f32_16x16x4_f32 a[16+0:19+0], v[vgprValuA_X3_I0+0+0+0], v[vgprG2LB+30+0], a[16:19]
/*  mfmaIndex:29  */
v_mfma_f32_16x16x4_f32 a[20+0:23+0], v[vgprValuA_X3_I0+1+0+0], v[vgprG2LB+30+0], a[20:23]
/*  mfmaIndex:30  */
v_mfma_f32_16x16x4_f32 a[24+0:27+0], v[vgprValuA_X3_I0+0+0+0], v[vgprG2LB+31+0], a[24:27]
/*  mfmaIndex:31  */
v_mfma_f32_16x16x4_f32 a[28+0:31+0], v[vgprValuA_X3_I0+1+0+0], v[vgprG2LB+31+0], a[28:31]

s_branch label_0018                                // Skip even code
label_0017: // EvenStartNoGlobalLoadLoopOrd 


/* iter 0 */

s_waitcnt vmcnt(8)                                 // lgkmcnt=-1 vmcnt=8global read wait for DirectToVgpr

/*  grEndMfmaIndex:6, lwStartMfmaIndex:21, lwEndMfmaIndex:22  */
/*  numMfmaForLR:7, barrierMfmaIndex:24, LocalWritePerMfma:0.500 */
/*  mfmaIndex:0  */
s_waitcnt lgkmcnt(0)                               // lgkmcnt=0 vmcnt=-1wait for prior local read local write old=0, new=0 newLW=0 newLR=0
v_mfma_f32_16x16x4_f32 a[0+0:3+0], v[vgprValuA_X0_I0+0+0+0], v[vgprG2LB+0+0], a[0:3]
/*  mfmaIndex:1  */
_ds_load_b32 v[vgprValuA_X1_I0+0], v[vgprLocalReadAddrA] offset:768 // L -> Reg lro=192 swapByteOffset=0 ti=16 vIdx=0 rIdx=0 oIdx=0 buffer=1 iui=0
_ds_load_b32 v[vgprValuA_X1_I0+1], v[vgprLocalReadAddrA] offset:832 // L -> Reg lro=192 swapByteOffset=0 ti=16 vIdx=1 rIdx=0 oIdx=0 buffer=1 iui=0
/* localReadsVacancy: latencyLeft 1 */

/* global read inc A loopL */
s_cmp_eq_u32 s[sgprLoopCounterL], s[sgprStaggerUIter] // Is this the wrapIter?
s_cselect_b32 s54, s[sgprWrapUA+0], s[sgprGlobalReadIncsA+0] // incLower <- ?
s_cselect_b32 s55, s[sgprWrapUA+1], 0              // incUpper <- ?
v_mfma_f32_16x16x4_f32 a[4+0:7+0], v[vgprValuA_X0_I0+1+0+0], v[vgprG2LB+0+0], a[4:7]
/*  mfmaIndex:2  */
/* localReadsVacancy: latencyLeft 5 */
_ds_load_b32 v[vgprValuA_X2_I0+0], v[vgprLocalReadAddrA] offset:1536 // L -> Reg lro=384 swapByteOffset=0 ti=16 vIdx=0 rIdx=0 oIdx=0 buffer=2 iui=0
_ds_load_b32 v[vgprValuA_X2_I0+1], v[vgprLocalReadAddrA] offset:1600 // L -> Reg lro=384 swapByteOffset=0 ti=16 vIdx=1 rIdx=0 oIdx=0 buffer=2 iui=0
s_add_u32 s[sgprSrdA+0], s[sgprSrdA+0], s54        // gra SRD += inc(lower)
s_addc_u32  s[sgprSrdA+1], s[sgprSrdA+1], s55      // gra SRD += inc(upper)
s_sub_u32 s[sgprShadowLimitA+0], s[sgprShadowLimitA+0], s54 // limit -= inc)
v_mfma_f32_16x16x4_f32 a[12+0:15+0], v[vgprValuA_X0_I0+1+0+0], v[vgprG2LB+1+0], a[12:15]
/*  mfmaIndex:3  */
/* localReadsVacancy: latencyLeft 5 */
_ds_load_b32 v[vgprValuA_X3_I0+0], v[vgprLocalReadAddrA] offset:2304 // L -> Reg lro=576 swapByteOffset=0 ti=16 vIdx=0 rIdx=0 oIdx=0 buffer=3 iui=0
_ds_load_b32 v[vgprValuA_X3_I0+1], v[vgprLocalReadAddrA] offset:2368 // L -> Reg lro=576 swapByteOffset=0 ti=16 vIdx=1 rIdx=0 oIdx=0 buffer=3 iui=0
s_subb_u32 s[sgprShadowLimitA+1], s[sgprShadowLimitA+1], s55 // limit -= inc)
s_cmp_eq_u32 s[sgprShadowLimitA+1], 0              // are we within 2^32?
s_cselect_b32 s[sgprSrdA+2], s[sgprShadowLimitA+0], BufferLimitA // Move shadow to real if we are within 2^32
v_mfma_f32_16x16x4_f32 a[8+0:11+0], v[vgprValuA_X0_I0+0+0+0], v[vgprG2LB+1+0], a[8:11]
/*  mfmaIndex:4  */
/* localReadsVacancy: latencyLeft 5 */

/* global read inc B loopL */
s_cmp_eq_u32 s[sgprLoopCounterL], s[sgprStaggerUIter] // Is this the wrapIter?
s_cselect_b32 s54, s[sgprWrapUB+0], s[sgprGlobalReadIncsB+0] // incLower <- ?
s_cselect_b32 s55, s[sgprWrapUB+1], 0              // incUpper <- ?
v_mfma_f32_16x16x4_f32 a[16+0:19+0], v[vgprValuA_X0_I0+0+0+0], v[vgprG2LB+2+0], a[16:19]
/*  mfmaIndex:5  */
/* localReadsVacancy: latencyLeft 5 */
s_add_u32 s[sgprSrdB+0], s[sgprSrdB+0], s54        // gra SRD += inc(lower)
s_addc_u32  s[sgprSrdB+1], s[sgprSrdB+1], s55      // gra SRD += inc(upper)
s_sub_u32 s[sgprShadowLimitB+0], s[sgprShadowLimitB+0], s54 // limit -= inc)
v_mfma_f32_16x16x4_f32 a[20+0:23+0], v[vgprValuA_X0_I0+1+0+0], v[vgprG2LB+2+0], a[20:23]
/*  mfmaIndex:6  */
/* localReadsVacancy: latencyLeft 5 */
s_subb_u32 s[sgprShadowLimitB+1], s[sgprShadowLimitB+1], s55 // limit -= inc)
s_cmp_eq_u32 s[sgprShadowLimitB+1], 0              // are we within 2^32?
s_cselect_b32 s[sgprSrdB+2], s[sgprShadowLimitB+0], BufferLimitB // Move shadow to real if we are within 2^32
v_mfma_f32_16x16x4_f32 a[28+0:31+0], v[vgprValuA_X0_I0+1+0+0], v[vgprG2LB+3+0], a[28:31]
/*  mfmaIndex:7  */
/* localReadsVacancy: latencyLeft 5 */
v_mfma_f32_16x16x4_f32 a[24+0:27+0], v[vgprValuA_X0_I0+0+0+0], v[vgprG2LB+3+0], a[24:27]
/* numPrefetchIter=0 */
/* dataAtIterA=-1 numReadsIterA=1 skipReadsIterA=1 readsPerIterA=2 */
/* dataAtIterB=-1 numReadsIterB=1 skipReadsIterB=1 readsPerIterB=4 */


/* iter 1 */

s_waitcnt vmcnt(7)                                 // lgkmcnt=-1 vmcnt=7global read wait for DirectToVgpr

/*  grEndMfmaIndex:6, lwStartMfmaIndex:21, lwEndMfmaIndex:22  */
/*  numMfmaForLR:7, barrierMfmaIndex:24, LocalWritePerMfma:0.500 */
/*  mfmaIndex:8  */
/* localReadsVacancy: latencyLeft 5 */
s_waitcnt lgkmcnt(4)                               // lgkmcnt=0 vmcnt=-1wait for prior local read local write old=2, new=2 newLW=0 newLR=0
v_mfma_f32_16x16x4_f32 a[0+0:3+0], v[vgprValuA_X1_I0+0+0+0], v[vgprG2LB+4+0], a[0:3]
/*  mfmaIndex:9  */
/* localReadsVacancy: latencyLeft 5 */
v_mfma_f32_16x16x4_f32 a[4+0:7+0], v[vgprValuA_X1_I0+1+0+0], v[vgprG2LB+4+0], a[4:7]
/*  mfmaIndex:10  */
/* localReadsVacancy: latencyLeft 5 */
	;; [unrolled: 3-line block ×7, first 2 shown]
v_mfma_f32_16x16x4_f32 a[24+0:27+0], v[vgprValuA_X1_I0+0+0+0], v[vgprG2LB+7+0], a[24:27]
/* numPrefetchIter=0 */
/* dataAtIterA=0 numReadsIterA=2 skipReadsIterA=1 readsPerIterA=2 */
/* dataAtIterB=0 numReadsIterB=2 skipReadsIterB=1 readsPerIterB=4 */


/* iter 2 (reset local read pointers iteration)  (swap and reset local write pointers iteration)  (swap local read pointers iteration)  */

s_waitcnt vmcnt(6)                                 // lgkmcnt=-1 vmcnt=6global read wait for DirectToVgpr

/*  grEndMfmaIndex:6, lwStartMfmaIndex:21, lwEndMfmaIndex:22  */
/*  numMfmaForLR:7, barrierMfmaIndex:24, LocalWritePerMfma:0.500 */
/*  mfmaIndex:16  */
/* localReadsVacancy: latencyLeft 5 */
s_waitcnt lgkmcnt(0)                               // lgkmcnt=0 vmcnt=-1wait for prior local read local write old=0, new=0 newLW=0 newLR=0
v_mfma_f32_16x16x4_f32 a[0+0:3+0], v[vgprValuA_X2_I0+0+0+0], v[vgprG2LB+8+0], a[0:3]
/*  mfmaIndex:17  */
/* localReadsVacancy: latencyLeft 5 */
v_mfma_f32_16x16x4_f32 a[4+0:7+0], v[vgprValuA_X2_I0+1+0+0], v[vgprG2LB+8+0], a[4:7]
/*  mfmaIndex:18  */
/* localReadsVacancy: latencyLeft 5 */
	;; [unrolled: 3-line block ×4, first 2 shown]
/* 1 LDS buffer: read-sync-write */
s_waitcnt lgkmcnt(0)                               // 
s_barrier                                          // 
v_mfma_f32_16x16x4_f32 a[16+0:19+0], v[vgprValuA_X2_I0+0+0+0], v[vgprG2LB+10+0], a[16:19]
/*  mfmaIndex:21  */
/* sched write - iter 2 writesPerItem=1 */
s_waitcnt vmcnt(0)                                 // lgkmcnt=-1 vmcnt=0wait for global read before writing to local
_ds_store_b64 v[vgprLocalWriteAddrA], v[vgprG2LA+0:vgprG2LA+0+1] offset:0 // lwoA_0_0_0_0 = (0*LSCA) + (0*LSPA)(*MT0I+PAD) = 0
v_mfma_f32_16x16x4_f32 a[20+0:23+0], v[vgprValuA_X2_I0+1+0+0], v[vgprG2LB+10+0], a[20:23]
/*  mfmaIndex:22  */

/* local write swap offsets a */

/* local write swap offsets b */
v_mfma_f32_16x16x4_f32 a[28+0:31+0], v[vgprValuA_X2_I0+1+0+0], v[vgprG2LB+11+0], a[28:31]
/*  mfmaIndex:23  */

/* local read swap offsets a */

/* local read swap offsets b */

/* local read init pointers a */

/* localReadInitPointers */

/* local read init pointers b */
v_mfma_f32_16x16x4_f32 a[24+0:27+0], v[vgprValuA_X2_I0+0+0+0], v[vgprG2LB+11+0], a[24:27]
/* numPrefetchIter=0 */
/* dataAtIterA=1 numReadsIterA=3 skipReadsIterA=1 readsPerIterA=2 */
/* dataAtIterB=1 numReadsIterB=3 skipReadsIterB=1 readsPerIterB=4 */


/* iter 3 */

/*  grEndMfmaIndex:6, lwStartMfmaIndex:21, lwEndMfmaIndex:22  */
/*  numMfmaForLR:7, barrierMfmaIndex:24, LocalWritePerMfma:0.500 */
/*  mfmaIndex:24  */
s_waitcnt lgkmcnt(0)                               // lgkmcnt=0 vmcnt=-13wait for local write
// Skip force waitcnt0
s_barrier //
v_mfma_f32_16x16x4_f32 a[0+0:3+0], v[vgprValuA_X3_I0+0+0+0], v[vgprG2LB+12+0], a[0:3]
/*  mfmaIndex:25  */
_ds_load_b32 v[vgprValuA_X0_I0+0], v[vgprLocalReadAddrA] offset:0 // L -> Reg lro=0 swapByteOffset=0 ti=16 vIdx=0 rIdx=0 oIdx=0 buffer=0 iui=0
_ds_load_b32 v[vgprValuA_X0_I0+1], v[vgprLocalReadAddrA] offset:64 // L -> Reg lro=0 swapByteOffset=0 ti=16 vIdx=1 rIdx=0 oIdx=0 buffer=0 iui=0
v_mfma_f32_16x16x4_f32 a[4+0:7+0], v[vgprValuA_X3_I0+1+0+0], v[vgprG2LB+12+0], a[4:7]
/*  mfmaIndex:26  */
v_mfma_f32_16x16x4_f32 a[8+0:11+0], v[vgprValuA_X3_I0+0+0+0], v[vgprG2LB+13+0], a[8:11]
/*  mfmaIndex:27  */
	;; [unrolled: 2-line block ×6, first 2 shown]
v_mfma_f32_16x16x4_f32 a[28+0:31+0], v[vgprValuA_X3_I0+1+0+0], v[vgprG2LB+15+0], a[28:31]

label_0018: // EvenEndNoGlobalLoadLoopOrd 

label_0014:


/******************************************/
/* Opt. NoLoadLoop Without PAP - Begin                                      */
/******************************************/

s_cmpk_eq_u32 s[sgprBeta], 0x0                     // Beta == 0
s_cbranch_scc0 OptNLL_End_19                       // Branch if Beta is not zero

s_cmp_eq_u32 s[sgprAlpha], 1.0                     // Alpha == 1.0 ?
s_cbranch_scc0 OptNLL_End_19                       // branch if alpha != 1

s_and_b32 s54, 31, s[sgprSizeI]                    // s54 = s[sgprSizeI] % 32
s_add_u32 s55, -0x1, s[sgprNumWorkGroups0]         // 
s_cmp_ge_u32 s[sgprWorkGroup0], s55                // wg0 >= nwg0-1 ?
s_cselect_b32 s54, s54, 0                          // set rMT0
s_cmpk_gt_u32 s54, 0x0                             // rMT0 > 0
s_cbranch_scc1 OptNLL_End_19                       // jump if edges required
s_and_b32 s54, 255, s[sgprSizeJ]                   // s54 = s[sgprSizeJ] % 256
s_add_u32 s55, -0x1, s[sgprNumWorkGroups1]         // 
s_cmp_ge_u32 s[sgprWorkGroup1], s55                // wg1 >= nwg1-1
s_cselect_b32 s54, s54, 0                          // set rMT1
s_cmpk_gt_u32 s54, 0x0                             // rMT1 > 0
s_cbranch_scc1 OptNLL_End_19                       // jump if edges required

s_and_b32 s55, 15, s[sgprSizesSum+0]               // s55 = s[sgprSizesSum+0] % 16
s_cmp_eq_u32 s55, 0x0                              // numIterL == 0
s_cbranch_scc0 OptNLL_End_19                       // skip if tail loop required

s_and_b32 s53, s[sgprOrigLoopCounter], 1           // test if OrigLoopCounter is Odd ?
s_cbranch_scc0 label_0020                          // Skip odd code if OrigLoopCounter is Even


	;; [unrolled: 1-line block ×3, first 2 shown]
/* iter 0 (last unrolled loop) */

s_waitcnt vmcnt(3)                                 // lgkmcnt=-1 vmcnt=3global read wait for DirectToVgpr

/*  grEndMfmaIndex:0, lwStartMfmaIndex:22, lwEndMfmaIndex:22  */
/*  numMfmaForLR:7, barrierMfmaIndex:24, LocalWritePerMfma:0.500 */
/*  mfmaIndex:0  */
s_waitcnt lgkmcnt(0)                               // lgkmcnt=0 vmcnt=-1wait for prior local read local write old=0, new=0 newLW=0 newLR=0
v_mfma_f32_16x16x4_f32 a[0+0:3+0], v[vgprValuA_X0_I0+0+0+0], v[vgprG2LB+0+0], a[0:3]
/*  mfmaIndex:1  */
_ds_load_b32 v[vgprValuA_X1_I0+0], v[vgprLocalReadAddrA] offset:768 // L -> Reg lro=192 swapByteOffset=0 ti=16 vIdx=0 rIdx=0 oIdx=0 buffer=1 iui=0
_ds_load_b32 v[vgprValuA_X1_I0+1], v[vgprLocalReadAddrA] offset:832 // L -> Reg lro=192 swapByteOffset=0 ti=16 vIdx=1 rIdx=0 oIdx=0 buffer=1 iui=0
/* localReadsVacancy: latencyLeft 1 */
v_mfma_f32_16x16x4_f32 a[4+0:7+0], v[vgprValuA_X0_I0+1+0+0], v[vgprG2LB+0+0], a[4:7]
/*  mfmaIndex:2  */
/* localReadsVacancy: latencyLeft 5 */
_ds_load_b32 v[vgprValuA_X2_I0+0], v[vgprLocalReadAddrA] offset:1536 // L -> Reg lro=384 swapByteOffset=0 ti=16 vIdx=0 rIdx=0 oIdx=0 buffer=2 iui=0
_ds_load_b32 v[vgprValuA_X2_I0+1], v[vgprLocalReadAddrA] offset:1600 // L -> Reg lro=384 swapByteOffset=0 ti=16 vIdx=1 rIdx=0 oIdx=0 buffer=2 iui=0
v_mfma_f32_16x16x4_f32 a[12+0:15+0], v[vgprValuA_X0_I0+1+0+0], v[vgprG2LB+1+0], a[12:15]
/*  mfmaIndex:3  */
/* localReadsVacancy: latencyLeft 5 */
_ds_load_b32 v[vgprValuA_X3_I0+0], v[vgprLocalReadAddrA] offset:2304 // L -> Reg lro=576 swapByteOffset=0 ti=16 vIdx=0 rIdx=0 oIdx=0 buffer=3 iui=0
_ds_load_b32 v[vgprValuA_X3_I0+1], v[vgprLocalReadAddrA] offset:2368 // L -> Reg lro=576 swapByteOffset=0 ti=16 vIdx=1 rIdx=0 oIdx=0 buffer=3 iui=0
v_mfma_f32_16x16x4_f32 a[8+0:11+0], v[vgprValuA_X0_I0+0+0+0], v[vgprG2LB+1+0], a[8:11]
/*  mfmaIndex:4  */
/* localReadsVacancy: latencyLeft 5 */
v_mfma_f32_16x16x4_f32 a[16+0:19+0], v[vgprValuA_X0_I0+0+0+0], v[vgprG2LB+2+0], a[16:19]
/*  mfmaIndex:5  */
/* localReadsVacancy: latencyLeft 5 */
	;; [unrolled: 3-line block ×4, first 2 shown]
v_mfma_f32_16x16x4_f32 a[24+0:27+0], v[vgprValuA_X0_I0+0+0+0], v[vgprG2LB+3+0], a[24:27]
/* numPrefetchIter=0 */
/* dataAtIterA=-1 numReadsIterA=1 skipReadsIterA=1 readsPerIterA=2 */
/* dataAtIterB=-1 numReadsIterB=1 skipReadsIterB=1 readsPerIterB=4 */


/* iter 1 (last unrolled loop) */

s_waitcnt vmcnt(2)                                 // lgkmcnt=-1 vmcnt=2global read wait for DirectToVgpr

/*  grEndMfmaIndex:0, lwStartMfmaIndex:22, lwEndMfmaIndex:22  */
/*  numMfmaForLR:7, barrierMfmaIndex:24, LocalWritePerMfma:0.500 */
/*  mfmaIndex:8  */
/* localReadsVacancy: latencyLeft 5 */
s_waitcnt lgkmcnt(4)                               // lgkmcnt=0 vmcnt=-1wait for prior local read local write old=2, new=2 newLW=0 newLR=0
v_mfma_f32_16x16x4_f32 a[0+0:3+0], v[vgprValuA_X1_I0+0+0+0], v[vgprG2LB+4+0], a[0:3]
/*  mfmaIndex:9  */
/* localReadsVacancy: latencyLeft 5 */
v_mfma_f32_16x16x4_f32 a[4+0:7+0], v[vgprValuA_X1_I0+1+0+0], v[vgprG2LB+4+0], a[4:7]
/*  mfmaIndex:10  */
/* localReadsVacancy: latencyLeft 5 */
	;; [unrolled: 3-line block ×7, first 2 shown]
v_mfma_f32_16x16x4_f32 a[24+0:27+0], v[vgprValuA_X1_I0+0+0+0], v[vgprG2LB+7+0], a[24:27]
/* numPrefetchIter=0 */
/* dataAtIterA=0 numReadsIterA=2 skipReadsIterA=1 readsPerIterA=2 */
/* dataAtIterB=0 numReadsIterB=2 skipReadsIterB=1 readsPerIterB=4 */


/* iter 2 (last unrolled loop) */

s_waitcnt vmcnt(1)                                 // lgkmcnt=-1 vmcnt=1global read wait for DirectToVgpr

/*  grEndMfmaIndex:0, lwStartMfmaIndex:22, lwEndMfmaIndex:22  */
/*  numMfmaForLR:7, barrierMfmaIndex:24, LocalWritePerMfma:0.500 */
/*  mfmaIndex:16  */
/* localReadsVacancy: latencyLeft 5 */
s_waitcnt lgkmcnt(0)                               // lgkmcnt=0 vmcnt=-1wait for prior local read local write old=0, new=0 newLW=0 newLR=0
v_mfma_f32_16x16x4_f32 a[0+0:3+0], v[vgprValuA_X2_I0+0+0+0], v[vgprG2LB+8+0], a[0:3]
/*  mfmaIndex:17  */
/* localReadsVacancy: latencyLeft 5 */
v_mfma_f32_16x16x4_f32 a[4+0:7+0], v[vgprValuA_X2_I0+1+0+0], v[vgprG2LB+8+0], a[4:7]
/*  mfmaIndex:18  */
/* localReadsVacancy: latencyLeft 5 */
	;; [unrolled: 3-line block ×5, first 2 shown]
/* 1 LDS buffer: read-sync-write */
s_waitcnt lgkmcnt(0)                               // 
s_barrier                                          // 
v_mfma_f32_16x16x4_f32 a[20+0:23+0], v[vgprValuA_X2_I0+1+0+0], v[vgprG2LB+10+0], a[20:23]
/*  mfmaIndex:22  */
/* localReadsVacancy: latencyLeft 5 */
v_mfma_f32_16x16x4_f32 a[28+0:31+0], v[vgprValuA_X2_I0+1+0+0], v[vgprG2LB+11+0], a[28:31]
/*  mfmaIndex:23  */
v_mfma_f32_16x16x4_f32 a[24+0:27+0], v[vgprValuA_X2_I0+0+0+0], v[vgprG2LB+11+0], a[24:27]
/* numPrefetchIter=0 */
/* dataAtIterA=1 numReadsIterA=3 skipReadsIterA=1 readsPerIterA=2 */
/* dataAtIterB=1 numReadsIterB=3 skipReadsIterB=1 readsPerIterB=4 */


/* iter 3 (last unrolled loop) */

s_waitcnt vmcnt(0)                                 // lgkmcnt=-1 vmcnt=0global read wait for DirectToVgpr

/*  grEndMfmaIndex:0, lwStartMfmaIndex:22, lwEndMfmaIndex:22  */
/*  numMfmaForLR:7, barrierMfmaIndex:24, LocalWritePerMfma:0.500 */
/*  mfmaIndex:24  */
v_mfma_f32_16x16x4_f32 a[0+0:3+0], v[vgprValuA_X3_I0+0+0+0], v[vgprG2LB+12+0], a[0:3]
/*  mfmaIndex:25  */
v_mfma_f32_16x16x4_f32 a[4+0:7+0], v[vgprValuA_X3_I0+1+0+0], v[vgprG2LB+12+0], a[4:7]
	;; [unrolled: 2-line block ×8, first 2 shown]

s_branch label_0021                                // Skip even code
label_0020: // EvenStartNoLoadLoopOpt 


	;; [unrolled: 1-line block ×3, first 2 shown]
/* iter 0 (last unrolled loop) */

s_waitcnt vmcnt(3)                                 // lgkmcnt=-1 vmcnt=3global read wait for DirectToVgpr

/*  grEndMfmaIndex:0, lwStartMfmaIndex:22, lwEndMfmaIndex:22  */
/*  numMfmaForLR:7, barrierMfmaIndex:24, LocalWritePerMfma:0.500 */
/*  mfmaIndex:0  */
s_waitcnt lgkmcnt(0)                               // lgkmcnt=0 vmcnt=-1wait for prior local read local write old=0, new=0 newLW=0 newLR=0
v_mfma_f32_16x16x4_f32 a[0+0:3+0], v[vgprValuA_X0_I0+0+0+0], v[vgprG2LB+16+0], a[0:3]
/*  mfmaIndex:1  */
_ds_load_b32 v[vgprValuA_X1_I0+0], v[vgprLocalReadAddrA] offset:768 // L -> Reg lro=192 swapByteOffset=0 ti=16 vIdx=0 rIdx=0 oIdx=0 buffer=1 iui=0
_ds_load_b32 v[vgprValuA_X1_I0+1], v[vgprLocalReadAddrA] offset:832 // L -> Reg lro=192 swapByteOffset=0 ti=16 vIdx=1 rIdx=0 oIdx=0 buffer=1 iui=0
/* localReadsVacancy: latencyLeft 1 */
v_mfma_f32_16x16x4_f32 a[4+0:7+0], v[vgprValuA_X0_I0+1+0+0], v[vgprG2LB+16+0], a[4:7]
/*  mfmaIndex:2  */
/* localReadsVacancy: latencyLeft 5 */
_ds_load_b32 v[vgprValuA_X2_I0+0], v[vgprLocalReadAddrA] offset:1536 // L -> Reg lro=384 swapByteOffset=0 ti=16 vIdx=0 rIdx=0 oIdx=0 buffer=2 iui=0
_ds_load_b32 v[vgprValuA_X2_I0+1], v[vgprLocalReadAddrA] offset:1600 // L -> Reg lro=384 swapByteOffset=0 ti=16 vIdx=1 rIdx=0 oIdx=0 buffer=2 iui=0
v_mfma_f32_16x16x4_f32 a[12+0:15+0], v[vgprValuA_X0_I0+1+0+0], v[vgprG2LB+17+0], a[12:15]
/*  mfmaIndex:3  */
/* localReadsVacancy: latencyLeft 5 */
_ds_load_b32 v[vgprValuA_X3_I0+0], v[vgprLocalReadAddrA] offset:2304 // L -> Reg lro=576 swapByteOffset=0 ti=16 vIdx=0 rIdx=0 oIdx=0 buffer=3 iui=0
_ds_load_b32 v[vgprValuA_X3_I0+1], v[vgprLocalReadAddrA] offset:2368 // L -> Reg lro=576 swapByteOffset=0 ti=16 vIdx=1 rIdx=0 oIdx=0 buffer=3 iui=0
v_mfma_f32_16x16x4_f32 a[8+0:11+0], v[vgprValuA_X0_I0+0+0+0], v[vgprG2LB+17+0], a[8:11]
/*  mfmaIndex:4  */
/* localReadsVacancy: latencyLeft 5 */
v_mfma_f32_16x16x4_f32 a[16+0:19+0], v[vgprValuA_X0_I0+0+0+0], v[vgprG2LB+18+0], a[16:19]
/*  mfmaIndex:5  */
/* localReadsVacancy: latencyLeft 5 */
	;; [unrolled: 3-line block ×4, first 2 shown]
v_mfma_f32_16x16x4_f32 a[24+0:27+0], v[vgprValuA_X0_I0+0+0+0], v[vgprG2LB+19+0], a[24:27]
/* numPrefetchIter=0 */
/* dataAtIterA=-1 numReadsIterA=1 skipReadsIterA=1 readsPerIterA=2 */
/* dataAtIterB=-1 numReadsIterB=1 skipReadsIterB=1 readsPerIterB=4 */


/* iter 1 (last unrolled loop) */

s_waitcnt vmcnt(2)                                 // lgkmcnt=-1 vmcnt=2global read wait for DirectToVgpr

/*  grEndMfmaIndex:0, lwStartMfmaIndex:22, lwEndMfmaIndex:22  */
/*  numMfmaForLR:7, barrierMfmaIndex:24, LocalWritePerMfma:0.500 */
/*  mfmaIndex:8  */
/* localReadsVacancy: latencyLeft 5 */
s_waitcnt lgkmcnt(4)                               // lgkmcnt=0 vmcnt=-1wait for prior local read local write old=2, new=2 newLW=0 newLR=0
v_mfma_f32_16x16x4_f32 a[0+0:3+0], v[vgprValuA_X1_I0+0+0+0], v[vgprG2LB+20+0], a[0:3]
/*  mfmaIndex:9  */
/* localReadsVacancy: latencyLeft 5 */
v_mfma_f32_16x16x4_f32 a[4+0:7+0], v[vgprValuA_X1_I0+1+0+0], v[vgprG2LB+20+0], a[4:7]
/*  mfmaIndex:10  */
/* localReadsVacancy: latencyLeft 5 */
	;; [unrolled: 3-line block ×7, first 2 shown]
v_mfma_f32_16x16x4_f32 a[24+0:27+0], v[vgprValuA_X1_I0+0+0+0], v[vgprG2LB+23+0], a[24:27]
/* numPrefetchIter=0 */
/* dataAtIterA=0 numReadsIterA=2 skipReadsIterA=1 readsPerIterA=2 */
/* dataAtIterB=0 numReadsIterB=2 skipReadsIterB=1 readsPerIterB=4 */


/* iter 2 (last unrolled loop) */

s_waitcnt vmcnt(1)                                 // lgkmcnt=-1 vmcnt=1global read wait for DirectToVgpr

/*  grEndMfmaIndex:0, lwStartMfmaIndex:22, lwEndMfmaIndex:22  */
/*  numMfmaForLR:7, barrierMfmaIndex:24, LocalWritePerMfma:0.500 */
/*  mfmaIndex:16  */
/* localReadsVacancy: latencyLeft 5 */
s_waitcnt lgkmcnt(0)                               // lgkmcnt=0 vmcnt=-1wait for prior local read local write old=0, new=0 newLW=0 newLR=0
v_mfma_f32_16x16x4_f32 a[0+0:3+0], v[vgprValuA_X2_I0+0+0+0], v[vgprG2LB+24+0], a[0:3]
/*  mfmaIndex:17  */
/* localReadsVacancy: latencyLeft 5 */
v_mfma_f32_16x16x4_f32 a[4+0:7+0], v[vgprValuA_X2_I0+1+0+0], v[vgprG2LB+24+0], a[4:7]
/*  mfmaIndex:18  */
/* localReadsVacancy: latencyLeft 5 */
	;; [unrolled: 3-line block ×5, first 2 shown]
/* 1 LDS buffer: read-sync-write */
s_waitcnt lgkmcnt(0)                               // 
s_barrier                                          // 
v_mfma_f32_16x16x4_f32 a[20+0:23+0], v[vgprValuA_X2_I0+1+0+0], v[vgprG2LB+26+0], a[20:23]
/*  mfmaIndex:22  */
/* localReadsVacancy: latencyLeft 5 */
v_mfma_f32_16x16x4_f32 a[28+0:31+0], v[vgprValuA_X2_I0+1+0+0], v[vgprG2LB+27+0], a[28:31]
/*  mfmaIndex:23  */
v_mfma_f32_16x16x4_f32 a[24+0:27+0], v[vgprValuA_X2_I0+0+0+0], v[vgprG2LB+27+0], a[24:27]
/* numPrefetchIter=0 */
/* dataAtIterA=1 numReadsIterA=3 skipReadsIterA=1 readsPerIterA=2 */
/* dataAtIterB=1 numReadsIterB=3 skipReadsIterB=1 readsPerIterB=4 */


/* iter 3 (last unrolled loop) */

s_waitcnt vmcnt(0)                                 // lgkmcnt=-1 vmcnt=0global read wait for DirectToVgpr

/*  grEndMfmaIndex:0, lwStartMfmaIndex:22, lwEndMfmaIndex:22  */
/*  numMfmaForLR:7, barrierMfmaIndex:24, LocalWritePerMfma:0.500 */
/*  mfmaIndex:24  */
v_mfma_f32_16x16x4_f32 a[0+0:3+0], v[vgprValuA_X3_I0+0+0+0], v[vgprG2LB+28+0], a[0:3]
/*  mfmaIndex:25  */
v_mfma_f32_16x16x4_f32 a[4+0:7+0], v[vgprValuA_X3_I0+1+0+0], v[vgprG2LB+28+0], a[4:7]
	;; [unrolled: 2-line block ×8, first 2 shown]

label_0021: // EvenEndNoLoadLoopOpt 

/* Stores for OptNLL */
Summation_End_OptNLL_22:
/* endSummation: add vgpr [0...48) to pool */

/* Mapping of Acc register -> C Vgpr register */
/* computeStoreVgprs */
v_lshrrev_b32 v4, 6, v[vgprSerial]                 // v4 = v[vgprSerial] / 64
v_lshrrev_b32 v1, 0, v4                            // v1 = v4 / 1
v_mul_lo_u32 v1, 0x10, v1                          // wave coordination offset 1
v_and_b32 v5, 15, v[vgprSerial]                    // v5 = v[vgprSerial] % 16
_v_add_lshl_u32 v1, v5, v1, 2                      // coordination 1 = vwb *(wave_id1 + tid1)
v_mul_lo_u32 v2, v1, s[sgprStrideC1J]              //  offset 1
v_mul_lo_u32 v3, v1, s[sgprStrideD1J]              //  offset 1
v_and_b32 v0, 63, v[vgprSerial]                    // v0 = v[vgprSerial] % 64
v_lshrrev_b32 v0, 4, v0                            // v0 = v0 / 16
v_lshlrev_b32 v0, 0x2, v0                          // thread0 * continuous_output
v_and_b32 v5, 0, v4                                // v5 = v4 % 1
v_mul_lo_u32 v5, 0x10, v5                          // wave coordination offset 0
_v_add_lshl_u32 v0, v5, v0, 0                      // coordination 0 = vwa *(wave_id0 + tid0)
s_mul_i32 s53, 32, s[sgprWorkGroup0]               // wgp0 * MT0
_v_add_u32 v0, s53, v0                             // coord 0 = (tid0/MI_m)*4 + waveG0*MIB_m + MT0*SG0
s_mul_i32 s53, 256, s[sgprWorkGroup1]              // wgp1 * MT1
_v_add_u32 v1, s53, v1                             // coord 1 = (tid0%MI_m) + waveG1*MIB_n + MT1*SG1
GW_B0_E0_25:

/* edge=0, allocate 2 sgpr. perBatchTmpS=2 perBatchMaskS=0 perElementMaskS=0 elementsPerBatch=13 */
/* optSingleColVgpr=1 optSharedColVgpr=0 optSGPRUsage=BufferLoad_Mask optSrdIncForRow=1 */

/******************************************/
/* Global Write Batch #0 (d1,d0,vc1,vc0) = */
/*    (0,0,0,0:vw4); (0,1,0,0:vw4); (0,0,1,0:vw4); (0,1,1,0:vw4); (0,0,2,0:vw4); (0,1,2,0:vw4); (0,0,3,0:vw4); (0,1,3,0:vw4) */
/******************************************/

/* calc coords, apply mask, and issue loads (if necessary) */
/* (d1,vc1,d0,vc0)=(0,0,0,0) */
/* (d1,vc1,d0,vc0)=(0,0,1,0) */
	;; [unrolled: 1-line block ×8, first 2 shown]
_v_add_lshl_u32 v6, v3, v0, 0x2                    // optSingleColVgpr scaleToBpe: sharedAddrVgpr <- cinRowPtr + coord0, scaled by BPE. BSHERE:coord0=0, coord0Vgpr=0
v_accvgpr_read_b32 v[vgprValuC+8], acc0 // copy acc to vreg[0]
v_accvgpr_read_b32 v[vgprValuC+9], acc1 // copy acc to vreg[1]
v_accvgpr_read_b32 v[vgprValuC+10], acc2 // copy acc to vreg[2]
v_accvgpr_read_b32 v[vgprValuC+11], acc3 // copy acc to vreg[3]
v_accvgpr_read_b32 v[vgprValuC+12], acc4 // copy acc to vreg[4]
v_accvgpr_read_b32 v[vgprValuC+13], acc5 // copy acc to vreg[5]
v_accvgpr_read_b32 v[vgprValuC+14], acc6 // copy acc to vreg[6]
v_accvgpr_read_b32 v[vgprValuC+15], acc7 // copy acc to vreg[7]
v_accvgpr_read_b32 v[vgprValuC+16], acc8 // copy acc to vreg[8]
v_accvgpr_read_b32 v[vgprValuC+17], acc9 // copy acc to vreg[9]
v_accvgpr_read_b32 v[vgprValuC+18], acc10 // copy acc to vreg[10]
v_accvgpr_read_b32 v[vgprValuC+19], acc11 // copy acc to vreg[11]
v_accvgpr_read_b32 v[vgprValuC+20], acc12 // copy acc to vreg[12]
v_accvgpr_read_b32 v[vgprValuC+21], acc13 // copy acc to vreg[13]
v_accvgpr_read_b32 v[vgprValuC+22], acc14 // copy acc to vreg[14]
v_accvgpr_read_b32 v[vgprValuC+23], acc15 // copy acc to vreg[15]
v_accvgpr_read_b32 v[vgprValuC+24], acc16 // copy acc to vreg[16]
v_accvgpr_read_b32 v[vgprValuC+25], acc17 // copy acc to vreg[17]
v_accvgpr_read_b32 v[vgprValuC+26], acc18 // copy acc to vreg[18]
v_accvgpr_read_b32 v[vgprValuC+27], acc19 // copy acc to vreg[19]
v_accvgpr_read_b32 v[vgprValuC+28], acc20 // copy acc to vreg[20]
v_accvgpr_read_b32 v[vgprValuC+29], acc21 // copy acc to vreg[21]
v_accvgpr_read_b32 v[vgprValuC+30], acc22 // copy acc to vreg[22]
v_accvgpr_read_b32 v[vgprValuC+31], acc23 // copy acc to vreg[23]
v_accvgpr_read_b32 v[vgprValuC+32], acc24 // copy acc to vreg[24]
v_accvgpr_read_b32 v[vgprValuC+33], acc25 // copy acc to vreg[25]
v_accvgpr_read_b32 v[vgprValuC+34], acc26 // copy acc to vreg[26]
v_accvgpr_read_b32 v[vgprValuC+35], acc27 // copy acc to vreg[27]
v_accvgpr_read_b32 v[vgprValuC+36], acc28 // copy acc to vreg[28]
v_accvgpr_read_b32 v[vgprValuC+37], acc29 // copy acc to vreg[29]
v_accvgpr_read_b32 v[vgprValuC+38], acc30 // copy acc to vreg[30]
v_accvgpr_read_b32 v[vgprValuC+39], acc31 // copy acc to vreg[31]
s_nop 1                                            // 2 wait states required before reading vgpr

/* apply mask, calc new C and issue writes */
_buffer_store_b128 v[8:11], v6, s[sgprSrdD:sgprSrdD+3], 0, offen, offset:0 // store D
_buffer_store_b128 v[12:15], v6, s[sgprSrdD:sgprSrdD+3], 0, offen, offset:64 // store D
s_lshl_b32  s54, s[sgprStrideD1J], 2               // incToNextRow: Scale by BPE
s_add_u32  s[sgprSrdD+0], s[sgprSrdD+0], s54       // incToNextRow: gra SRD += inc(lower)
s_addc_u32  s[sgprSrdD+1], s[sgprSrdD+1], 0        // incToNextRow: gra SRD += inc(upper)
_buffer_store_b128 v[16:19], v6, s[sgprSrdD:sgprSrdD+3], 0, offen, offset:0 // store D
_buffer_store_b128 v[20:23], v6, s[sgprSrdD:sgprSrdD+3], 0, offen, offset:64 // store D
s_lshl_b32  s54, s[sgprStrideD1J], 2               // incToNextRow: Scale by BPE
s_add_u32  s[sgprSrdD+0], s[sgprSrdD+0], s54       // incToNextRow: gra SRD += inc(lower)
s_addc_u32  s[sgprSrdD+1], s[sgprSrdD+1], 0        // incToNextRow: gra SRD += inc(upper)
_buffer_store_b128 v[24:27], v6, s[sgprSrdD:sgprSrdD+3], 0, offen, offset:0 // store D
_buffer_store_b128 v[28:31], v6, s[sgprSrdD:sgprSrdD+3], 0, offen, offset:64 // store D
s_lshl_b32  s54, s[sgprStrideD1J], 2               // incToNextRow: Scale by BPE
s_add_u32  s[sgprSrdD+0], s[sgprSrdD+0], s54       // incToNextRow: gra SRD += inc(lower)
s_addc_u32  s[sgprSrdD+1], s[sgprSrdD+1], 0        // incToNextRow: gra SRD += inc(upper)
_buffer_store_b128 v[32:35], v6, s[sgprSrdD:sgprSrdD+3], 0, offen, offset:0 // store D
_buffer_store_b128 v[36:39], v6, s[sgprSrdD:sgprSrdD+3], 0, offen, offset:64 // store D
s_nop 0                                            // 1 wait state required when next inst writes vgprs held by previous dwordx4 store inst
s_branch label_GW_End_27                           // jump to end
label_GW_End_27:

s_endpgm                                           // Kernel End
OptNLL_End_19:


/******************************************/
/* Ord. NoLoadLoop - Begin                                      */
/******************************************/


s_and_b32 s53, s[sgprOrigLoopCounter], 1           // test if OrigLoopCounter is Odd ?
s_cbranch_scc0 label_0032                          // Skip odd code if OrigLoopCounter is Even


	;; [unrolled: 1-line block ×3, first 2 shown]
/* iter 0 (last unrolled loop) */

s_waitcnt vmcnt(3)                                 // lgkmcnt=-1 vmcnt=3global read wait for DirectToVgpr

/*  grEndMfmaIndex:0, lwStartMfmaIndex:22, lwEndMfmaIndex:22  */
/*  numMfmaForLR:7, barrierMfmaIndex:24, LocalWritePerMfma:0.500 */
/*  mfmaIndex:0  */
s_waitcnt lgkmcnt(0)                               // lgkmcnt=0 vmcnt=-1wait for prior local read local write old=0, new=0 newLW=0 newLR=0
v_mfma_f32_16x16x4_f32 a[0+0:3+0], v[vgprValuA_X0_I0+0+0+0], v[vgprG2LB+0+0], a[0:3]
/*  mfmaIndex:1  */
_ds_load_b32 v[vgprValuA_X1_I0+0], v[vgprLocalReadAddrA] offset:768 // L -> Reg lro=192 swapByteOffset=0 ti=16 vIdx=0 rIdx=0 oIdx=0 buffer=1 iui=0
_ds_load_b32 v[vgprValuA_X1_I0+1], v[vgprLocalReadAddrA] offset:832 // L -> Reg lro=192 swapByteOffset=0 ti=16 vIdx=1 rIdx=0 oIdx=0 buffer=1 iui=0
/* localReadsVacancy: latencyLeft 1 */
v_mfma_f32_16x16x4_f32 a[4+0:7+0], v[vgprValuA_X0_I0+1+0+0], v[vgprG2LB+0+0], a[4:7]
/*  mfmaIndex:2  */
/* localReadsVacancy: latencyLeft 5 */
_ds_load_b32 v[vgprValuA_X2_I0+0], v[vgprLocalReadAddrA] offset:1536 // L -> Reg lro=384 swapByteOffset=0 ti=16 vIdx=0 rIdx=0 oIdx=0 buffer=2 iui=0
_ds_load_b32 v[vgprValuA_X2_I0+1], v[vgprLocalReadAddrA] offset:1600 // L -> Reg lro=384 swapByteOffset=0 ti=16 vIdx=1 rIdx=0 oIdx=0 buffer=2 iui=0
v_mfma_f32_16x16x4_f32 a[12+0:15+0], v[vgprValuA_X0_I0+1+0+0], v[vgprG2LB+1+0], a[12:15]
/*  mfmaIndex:3  */
/* localReadsVacancy: latencyLeft 5 */
_ds_load_b32 v[vgprValuA_X3_I0+0], v[vgprLocalReadAddrA] offset:2304 // L -> Reg lro=576 swapByteOffset=0 ti=16 vIdx=0 rIdx=0 oIdx=0 buffer=3 iui=0
_ds_load_b32 v[vgprValuA_X3_I0+1], v[vgprLocalReadAddrA] offset:2368 // L -> Reg lro=576 swapByteOffset=0 ti=16 vIdx=1 rIdx=0 oIdx=0 buffer=3 iui=0
v_mfma_f32_16x16x4_f32 a[8+0:11+0], v[vgprValuA_X0_I0+0+0+0], v[vgprG2LB+1+0], a[8:11]
/*  mfmaIndex:4  */
/* localReadsVacancy: latencyLeft 5 */
v_mfma_f32_16x16x4_f32 a[16+0:19+0], v[vgprValuA_X0_I0+0+0+0], v[vgprG2LB+2+0], a[16:19]
/*  mfmaIndex:5  */
/* localReadsVacancy: latencyLeft 5 */
	;; [unrolled: 3-line block ×4, first 2 shown]
v_mfma_f32_16x16x4_f32 a[24+0:27+0], v[vgprValuA_X0_I0+0+0+0], v[vgprG2LB+3+0], a[24:27]
/* numPrefetchIter=0 */
/* dataAtIterA=-1 numReadsIterA=1 skipReadsIterA=1 readsPerIterA=2 */
/* dataAtIterB=-1 numReadsIterB=1 skipReadsIterB=1 readsPerIterB=4 */


/* iter 1 (last unrolled loop) */

s_waitcnt vmcnt(2)                                 // lgkmcnt=-1 vmcnt=2global read wait for DirectToVgpr

/*  grEndMfmaIndex:0, lwStartMfmaIndex:22, lwEndMfmaIndex:22  */
/*  numMfmaForLR:7, barrierMfmaIndex:24, LocalWritePerMfma:0.500 */
/*  mfmaIndex:8  */
/* localReadsVacancy: latencyLeft 5 */
s_waitcnt lgkmcnt(4)                               // lgkmcnt=0 vmcnt=-1wait for prior local read local write old=2, new=2 newLW=0 newLR=0
v_mfma_f32_16x16x4_f32 a[0+0:3+0], v[vgprValuA_X1_I0+0+0+0], v[vgprG2LB+4+0], a[0:3]
/*  mfmaIndex:9  */
/* localReadsVacancy: latencyLeft 5 */
v_mfma_f32_16x16x4_f32 a[4+0:7+0], v[vgprValuA_X1_I0+1+0+0], v[vgprG2LB+4+0], a[4:7]
/*  mfmaIndex:10  */
/* localReadsVacancy: latencyLeft 5 */
	;; [unrolled: 3-line block ×7, first 2 shown]
v_mfma_f32_16x16x4_f32 a[24+0:27+0], v[vgprValuA_X1_I0+0+0+0], v[vgprG2LB+7+0], a[24:27]
/* numPrefetchIter=0 */
/* dataAtIterA=0 numReadsIterA=2 skipReadsIterA=1 readsPerIterA=2 */
/* dataAtIterB=0 numReadsIterB=2 skipReadsIterB=1 readsPerIterB=4 */


/* iter 2 (last unrolled loop) */

s_waitcnt vmcnt(1)                                 // lgkmcnt=-1 vmcnt=1global read wait for DirectToVgpr

/*  grEndMfmaIndex:0, lwStartMfmaIndex:22, lwEndMfmaIndex:22  */
/*  numMfmaForLR:7, barrierMfmaIndex:24, LocalWritePerMfma:0.500 */
/*  mfmaIndex:16  */
/* localReadsVacancy: latencyLeft 5 */
s_waitcnt lgkmcnt(0)                               // lgkmcnt=0 vmcnt=-1wait for prior local read local write old=0, new=0 newLW=0 newLR=0
v_mfma_f32_16x16x4_f32 a[0+0:3+0], v[vgprValuA_X2_I0+0+0+0], v[vgprG2LB+8+0], a[0:3]
/*  mfmaIndex:17  */
/* localReadsVacancy: latencyLeft 5 */
v_mfma_f32_16x16x4_f32 a[4+0:7+0], v[vgprValuA_X2_I0+1+0+0], v[vgprG2LB+8+0], a[4:7]
/*  mfmaIndex:18  */
/* localReadsVacancy: latencyLeft 5 */
	;; [unrolled: 3-line block ×5, first 2 shown]
/* 1 LDS buffer: read-sync-write */
s_waitcnt lgkmcnt(0)                               // 
s_barrier                                          // 
v_mfma_f32_16x16x4_f32 a[20+0:23+0], v[vgprValuA_X2_I0+1+0+0], v[vgprG2LB+10+0], a[20:23]
/*  mfmaIndex:22  */
/* localReadsVacancy: latencyLeft 5 */
v_mfma_f32_16x16x4_f32 a[28+0:31+0], v[vgprValuA_X2_I0+1+0+0], v[vgprG2LB+11+0], a[28:31]
/*  mfmaIndex:23  */
v_mfma_f32_16x16x4_f32 a[24+0:27+0], v[vgprValuA_X2_I0+0+0+0], v[vgprG2LB+11+0], a[24:27]
/* numPrefetchIter=0 */
/* dataAtIterA=1 numReadsIterA=3 skipReadsIterA=1 readsPerIterA=2 */
/* dataAtIterB=1 numReadsIterB=3 skipReadsIterB=1 readsPerIterB=4 */


/* iter 3 (last unrolled loop) */

s_waitcnt vmcnt(0)                                 // lgkmcnt=-1 vmcnt=0global read wait for DirectToVgpr

/*  grEndMfmaIndex:0, lwStartMfmaIndex:22, lwEndMfmaIndex:22  */
/*  numMfmaForLR:7, barrierMfmaIndex:24, LocalWritePerMfma:0.500 */
/*  mfmaIndex:24  */
v_mfma_f32_16x16x4_f32 a[0+0:3+0], v[vgprValuA_X3_I0+0+0+0], v[vgprG2LB+12+0], a[0:3]
/*  mfmaIndex:25  */
v_mfma_f32_16x16x4_f32 a[4+0:7+0], v[vgprValuA_X3_I0+1+0+0], v[vgprG2LB+12+0], a[4:7]
	;; [unrolled: 2-line block ×8, first 2 shown]

s_branch label_0033                                // Skip even code
label_0032: // EvenStartNoLoadLoopOrd 



/* iter 0 (last unrolled loop) */

s_waitcnt vmcnt(3)                                 // lgkmcnt=-1 vmcnt=3global read wait for DirectToVgpr

/*  grEndMfmaIndex:0, lwStartMfmaIndex:22, lwEndMfmaIndex:22  */
/*  numMfmaForLR:7, barrierMfmaIndex:24, LocalWritePerMfma:0.500 */
/*  mfmaIndex:0  */
s_waitcnt lgkmcnt(0)                               // lgkmcnt=0 vmcnt=-1wait for prior local read local write old=0, new=0 newLW=0 newLR=0
v_mfma_f32_16x16x4_f32 a[0+0:3+0], v[vgprValuA_X0_I0+0+0+0], v[vgprG2LB+16+0], a[0:3]
/*  mfmaIndex:1  */
_ds_load_b32 v[vgprValuA_X1_I0+0], v[vgprLocalReadAddrA] offset:768 // L -> Reg lro=192 swapByteOffset=0 ti=16 vIdx=0 rIdx=0 oIdx=0 buffer=1 iui=0
_ds_load_b32 v[vgprValuA_X1_I0+1], v[vgprLocalReadAddrA] offset:832 // L -> Reg lro=192 swapByteOffset=0 ti=16 vIdx=1 rIdx=0 oIdx=0 buffer=1 iui=0
/* localReadsVacancy: latencyLeft 1 */
v_mfma_f32_16x16x4_f32 a[4+0:7+0], v[vgprValuA_X0_I0+1+0+0], v[vgprG2LB+16+0], a[4:7]
/*  mfmaIndex:2  */
/* localReadsVacancy: latencyLeft 5 */
_ds_load_b32 v[vgprValuA_X2_I0+0], v[vgprLocalReadAddrA] offset:1536 // L -> Reg lro=384 swapByteOffset=0 ti=16 vIdx=0 rIdx=0 oIdx=0 buffer=2 iui=0
_ds_load_b32 v[vgprValuA_X2_I0+1], v[vgprLocalReadAddrA] offset:1600 // L -> Reg lro=384 swapByteOffset=0 ti=16 vIdx=1 rIdx=0 oIdx=0 buffer=2 iui=0
v_mfma_f32_16x16x4_f32 a[12+0:15+0], v[vgprValuA_X0_I0+1+0+0], v[vgprG2LB+17+0], a[12:15]
/*  mfmaIndex:3  */
/* localReadsVacancy: latencyLeft 5 */
_ds_load_b32 v[vgprValuA_X3_I0+0], v[vgprLocalReadAddrA] offset:2304 // L -> Reg lro=576 swapByteOffset=0 ti=16 vIdx=0 rIdx=0 oIdx=0 buffer=3 iui=0
_ds_load_b32 v[vgprValuA_X3_I0+1], v[vgprLocalReadAddrA] offset:2368 // L -> Reg lro=576 swapByteOffset=0 ti=16 vIdx=1 rIdx=0 oIdx=0 buffer=3 iui=0
v_mfma_f32_16x16x4_f32 a[8+0:11+0], v[vgprValuA_X0_I0+0+0+0], v[vgprG2LB+17+0], a[8:11]
/*  mfmaIndex:4  */
/* localReadsVacancy: latencyLeft 5 */
v_mfma_f32_16x16x4_f32 a[16+0:19+0], v[vgprValuA_X0_I0+0+0+0], v[vgprG2LB+18+0], a[16:19]
/*  mfmaIndex:5  */
/* localReadsVacancy: latencyLeft 5 */
	;; [unrolled: 3-line block ×4, first 2 shown]
v_mfma_f32_16x16x4_f32 a[24+0:27+0], v[vgprValuA_X0_I0+0+0+0], v[vgprG2LB+19+0], a[24:27]
/* numPrefetchIter=0 */
/* dataAtIterA=-1 numReadsIterA=1 skipReadsIterA=1 readsPerIterA=2 */
/* dataAtIterB=-1 numReadsIterB=1 skipReadsIterB=1 readsPerIterB=4 */


/* iter 1 (last unrolled loop) */

s_waitcnt vmcnt(2)                                 // lgkmcnt=-1 vmcnt=2global read wait for DirectToVgpr

/*  grEndMfmaIndex:0, lwStartMfmaIndex:22, lwEndMfmaIndex:22  */
/*  numMfmaForLR:7, barrierMfmaIndex:24, LocalWritePerMfma:0.500 */
/*  mfmaIndex:8  */
/* localReadsVacancy: latencyLeft 5 */
s_waitcnt lgkmcnt(4)                               // lgkmcnt=0 vmcnt=-1wait for prior local read local write old=2, new=2 newLW=0 newLR=0
v_mfma_f32_16x16x4_f32 a[0+0:3+0], v[vgprValuA_X1_I0+0+0+0], v[vgprG2LB+20+0], a[0:3]
/*  mfmaIndex:9  */
/* localReadsVacancy: latencyLeft 5 */
v_mfma_f32_16x16x4_f32 a[4+0:7+0], v[vgprValuA_X1_I0+1+0+0], v[vgprG2LB+20+0], a[4:7]
/*  mfmaIndex:10  */
/* localReadsVacancy: latencyLeft 5 */
	;; [unrolled: 3-line block ×7, first 2 shown]
v_mfma_f32_16x16x4_f32 a[24+0:27+0], v[vgprValuA_X1_I0+0+0+0], v[vgprG2LB+23+0], a[24:27]
/* numPrefetchIter=0 */
/* dataAtIterA=0 numReadsIterA=2 skipReadsIterA=1 readsPerIterA=2 */
/* dataAtIterB=0 numReadsIterB=2 skipReadsIterB=1 readsPerIterB=4 */


/* iter 2 (last unrolled loop) */

s_waitcnt vmcnt(1)                                 // lgkmcnt=-1 vmcnt=1global read wait for DirectToVgpr

/*  grEndMfmaIndex:0, lwStartMfmaIndex:22, lwEndMfmaIndex:22  */
/*  numMfmaForLR:7, barrierMfmaIndex:24, LocalWritePerMfma:0.500 */
/*  mfmaIndex:16  */
/* localReadsVacancy: latencyLeft 5 */
s_waitcnt lgkmcnt(0)                               // lgkmcnt=0 vmcnt=-1wait for prior local read local write old=0, new=0 newLW=0 newLR=0
v_mfma_f32_16x16x4_f32 a[0+0:3+0], v[vgprValuA_X2_I0+0+0+0], v[vgprG2LB+24+0], a[0:3]
/*  mfmaIndex:17  */
/* localReadsVacancy: latencyLeft 5 */
v_mfma_f32_16x16x4_f32 a[4+0:7+0], v[vgprValuA_X2_I0+1+0+0], v[vgprG2LB+24+0], a[4:7]
/*  mfmaIndex:18  */
/* localReadsVacancy: latencyLeft 5 */
	;; [unrolled: 3-line block ×5, first 2 shown]
/* 1 LDS buffer: read-sync-write */
s_waitcnt lgkmcnt(0)                               // 
s_barrier                                          // 
v_mfma_f32_16x16x4_f32 a[20+0:23+0], v[vgprValuA_X2_I0+1+0+0], v[vgprG2LB+26+0], a[20:23]
/*  mfmaIndex:22  */
/* localReadsVacancy: latencyLeft 5 */
v_mfma_f32_16x16x4_f32 a[28+0:31+0], v[vgprValuA_X2_I0+1+0+0], v[vgprG2LB+27+0], a[28:31]
/*  mfmaIndex:23  */
v_mfma_f32_16x16x4_f32 a[24+0:27+0], v[vgprValuA_X2_I0+0+0+0], v[vgprG2LB+27+0], a[24:27]
/* numPrefetchIter=0 */
/* dataAtIterA=1 numReadsIterA=3 skipReadsIterA=1 readsPerIterA=2 */
/* dataAtIterB=1 numReadsIterB=3 skipReadsIterB=1 readsPerIterB=4 */


/* iter 3 (last unrolled loop) */

s_waitcnt vmcnt(0)                                 // lgkmcnt=-1 vmcnt=0global read wait for DirectToVgpr

/*  grEndMfmaIndex:0, lwStartMfmaIndex:22, lwEndMfmaIndex:22  */
/*  numMfmaForLR:7, barrierMfmaIndex:24, LocalWritePerMfma:0.500 */
/*  mfmaIndex:24  */
v_mfma_f32_16x16x4_f32 a[0+0:3+0], v[vgprValuA_X3_I0+0+0+0], v[vgprG2LB+28+0], a[0:3]
/*  mfmaIndex:25  */
v_mfma_f32_16x16x4_f32 a[4+0:7+0], v[vgprValuA_X3_I0+1+0+0], v[vgprG2LB+28+0], a[4:7]
	;; [unrolled: 2-line block ×8, first 2 shown]

label_0033: // EvenEndNoLoadLoopOrd 

PrefetchGlobalLastIterEnd_5:


/******************************************/
/* Tail Loop                              */
/******************************************/


/* local write reset offsets a */




/* local write reset offsets b */


	;; [unrolled: 1-line block ×4, first 2 shown]
//numIterL = (((sizeL % LOCAL_DEPTHU) + LOCAL_SPLITU - 1) / LOCAL_SPLITU)
s_and_b32 s[sgprLoopCounterL], 15, s[sgprSizesSum+0] // s[sgprLoopCounterL] = s[sgprSizesSum+0] % 16
s_cmp_eq_u32 s[sgprLoopCounterL], 0x0              // numIterL == 0
s_cbranch_scc1 SkipTailLoopL_8                     // skip to end of tail loop b/c numIter==0
s_mov_b32 s[sgprOrigLoopCounter], 0                // repurpose to count each localRead increment


/* remove stagger offsets for tail loop */

s_mov_b32 s56, 3                                   // 
s_mul_hi_u32 s55, s56, s[sgprGlobalReadIncsA+0]    // 3 * GlobalReadIncs
s_mul_i32 s54, s56, s[sgprGlobalReadIncsA+0]       // 3 * GlobalReadIncs
s_mul_hi_u32 s57, s[sgprStaggerUIter], s[sgprGlobalReadIncsA+0] // StaggerUIter * GlobalReadIncs
s_mul_i32 s56, s[sgprStaggerUIter], s[sgprGlobalReadIncsA+0] // StaggerUIter * GlobalReadIncs
s_sub_u32 s54, s54, s56                            // start offset S in bytes
s_subb_u32 s55, s55, s57                           // start offset S in bytes
s_sub_u32 s54, s54, s[sgprWrapUA]                  // S - WrapU
s_subb_u32 s55, s55, s[sgprWrapUA+1]               // S - WrapU
s_add_u32 s[sgprSrdA+0], s[sgprSrdA+0], s54        // gra SRD += inc(lower)
s_addc_u32  s[sgprSrdA+1], s[sgprSrdA+1], s55      // gra SRD += inc(upper)
s_sub_u32 s[sgprShadowLimitA+0], s[sgprShadowLimitA+0], s54 // limit -= inc)
s_subb_u32 s[sgprShadowLimitA+1], s[sgprShadowLimitA+1], s55 // limit -= inc)
s_cmp_eq_u32 s[sgprShadowLimitA+1], 0              // are we within 2^32?
s_cselect_b32 s[sgprSrdA+2], s[sgprShadowLimitA+0], BufferLimitA // Move shadow to real if we are within 2^32

s_mov_b32 s56, 3                                   // 
s_mul_hi_u32 s55, s56, s[sgprGlobalReadIncsB+0]    // 3 * GlobalReadIncs
s_mul_i32 s54, s56, s[sgprGlobalReadIncsB+0]       // 3 * GlobalReadIncs
s_mul_hi_u32 s57, s[sgprStaggerUIter], s[sgprGlobalReadIncsB+0] // StaggerUIter * GlobalReadIncs
s_mul_i32 s56, s[sgprStaggerUIter], s[sgprGlobalReadIncsB+0] // StaggerUIter * GlobalReadIncs
s_sub_u32 s54, s54, s56                            // start offset S in bytes
s_subb_u32 s55, s55, s57                           // start offset S in bytes
s_sub_u32 s54, s54, s[sgprWrapUB]                  // S - WrapU
s_subb_u32 s55, s55, s[sgprWrapUB+1]               // S - WrapU
s_add_u32 s[sgprSrdB+0], s[sgprSrdB+0], s54        // gra SRD += inc(lower)
s_addc_u32  s[sgprSrdB+1], s[sgprSrdB+1], s55      // gra SRD += inc(upper)
s_sub_u32 s[sgprShadowLimitB+0], s[sgprShadowLimitB+0], s54 // limit -= inc)
s_subb_u32 s[sgprShadowLimitB+1], s[sgprShadowLimitB+1], s55 // limit -= inc)
s_cmp_eq_u32 s[sgprShadowLimitB+1], 0              // are we within 2^32?
s_cselect_b32 s[sgprSrdB+2], s[sgprShadowLimitB+0], BufferLimitB // Move shadow to real if we are within 2^32


/* Update M0 for DTLDS */


	;; [unrolled: 1-line block ×3, first 2 shown]
/* global read a */

/* g2l=0, load component 0 */
_buffer_load_b32 v[vgprG2LA+0+0], v[vgprGlobalReadOffsetA+0], s[sgprSrdA:sgprSrdA+3], 0, offen offset:0 // load one buffer value
/* g2l=0, load component 1 */
_buffer_load_b32 v[vgprG2LA+0+1], v[vgprGlobalReadOffsetA+0], s[sgprSrdA:sgprSrdA+3], 0, offen offset:4 // load one buffer value


/* Update M0 for DTLDS */


	;; [unrolled: 1-line block ×3, first 2 shown]
/* global read b */

/* g2l=0, load component 0 */
_buffer_load_b32 v[vgprG2LB+0+0], v[vgprGlobalReadOffsetB+0], s[sgprSrdB:sgprSrdB+3], 0, offen offset:0,  sc0 // load one buffer value
/* g2l=0, load component 1 */
_buffer_load_b32 v[vgprG2LB+0+1], v[vgprGlobalReadOffsetB+0], s[sgprSrdB:sgprSrdB+3], 0, offen offset:4,  sc0 // load one buffer value
	;; [unrolled: 2-line block ×16, first 2 shown]

s_waitcnt vmcnt(0)                                 // lgkmcnt=-1 vmcnt=02wait for global read

// Skip force waitcnt0
s_barrier //


/* Done global A/B reads */


	;; [unrolled: 1-line block ×4, first 2 shown]
/* local write a */

_ds_store_b64 v[vgprLocalWriteAddrA], v[vgprG2LA+0:vgprG2LA+0+1] offset:0 // lwoA_0_0_0_0 = (0*LSCA) + (0*LSPA)(*MT0I+PAD) = 0


/* local write b */


s_waitcnt lgkmcnt(0)                               // lgkmcnt=0 vmcnt=-15wait for local write

// Skip force waitcnt0
s_barrier //


/* local read reset offsets a */



/* local read reset offsets b */


	;; [unrolled: 1-line block ×3, first 2 shown]
/* local read init pointers a */


/* localReadInitPointers */


/* local read init pointers b */


	;; [unrolled: 1-line block ×3, first 2 shown]
/* tail loop: macs */

TailLoopBeginL_6:


/* tail loop unroll iter 0 */


/* local read a */

_ds_load_b32 v[vgprValuA_X0_I0+0], v[vgprLocalReadAddrA] offset:0 // L -> Reg lro=0 swapByteOffset=0 ti=16 vIdx=0 rIdx=0 oIdx=0 buffer=0 iui=0
_ds_load_b32 v[vgprValuA_X0_I0+1], v[vgprLocalReadAddrA] offset:64 // L -> Reg lro=0 swapByteOffset=0 ti=16 vIdx=1 rIdx=0 oIdx=0 buffer=0 iui=0


/* local read b */


	;; [unrolled: 1-line block ×3, first 2 shown]
/* local read inc a */

s_mov_b32 s53, 0x300                               // inc
_v_add_co_u32 v[vgprLocalReadAddrA], vcc, s53, v[vgprLocalReadAddrA] // lrA += 768 (LSU*(MT+PAD)*bpe)


/* local read inc b */


s_waitcnt lgkmcnt(0)                               // lgkmcnt=0 vmcnt=-14wait for local read


v_mfma_f32_16x16x4_f32 a[0+0:3+0], v[vgprValuA_X0_I0+0+0+0], v[vgprG2LB+0+0], a[0:3]
v_mfma_f32_16x16x4_f32 a[4+0:7+0], v[vgprValuA_X0_I0+1+0+0], v[vgprG2LB+0+0], a[4:7]
	;; [unrolled: 1-line block ×8, first 2 shown]


/* closeLoop loopL finalLoop=0 tailLoop=1 */
s_sub_i32 s[sgprLoopCounterL], s[sgprLoopCounterL], 0x4 // dec counterL (tailLoop)
s_add_u32 s[sgprOrigLoopCounter], s[sgprOrigLoopCounter], 0x4 // inc counterL
s_cmp_le_i32 s[sgprLoopCounterL], 0x0              // counterL<=0
s_cbranch_scc1 TailLoopEndL_7                      // exit LoopL


/* tail loop unroll iter 1 */


/* local read a */

_ds_load_b32 v[vgprValuA_X1_I0+0], v[vgprLocalReadAddrA] offset:0 // L -> Reg lro=0 swapByteOffset=0 ti=16 vIdx=0 rIdx=0 oIdx=0 buffer=1 iui=0
_ds_load_b32 v[vgprValuA_X1_I0+1], v[vgprLocalReadAddrA] offset:64 // L -> Reg lro=0 swapByteOffset=0 ti=16 vIdx=1 rIdx=0 oIdx=0 buffer=1 iui=0


/* local read b */


	;; [unrolled: 1-line block ×3, first 2 shown]
/* local read inc a */

s_mov_b32 s53, 0x300                               // inc
_v_add_co_u32 v[vgprLocalReadAddrA], vcc, s53, v[vgprLocalReadAddrA] // lrA += 768 (LSU*(MT+PAD)*bpe)


/* local read inc b */


s_waitcnt lgkmcnt(0)                               // lgkmcnt=0 vmcnt=-14wait for local read


v_mfma_f32_16x16x4_f32 a[0+0:3+0], v[vgprValuA_X1_I0+0+0+0], v[vgprG2LB+4+0], a[0:3]
v_mfma_f32_16x16x4_f32 a[4+0:7+0], v[vgprValuA_X1_I0+1+0+0], v[vgprG2LB+4+0], a[4:7]
	;; [unrolled: 1-line block ×8, first 2 shown]


/* closeLoop loopL finalLoop=0 tailLoop=1 */
s_sub_i32 s[sgprLoopCounterL], s[sgprLoopCounterL], 0x4 // dec counterL (tailLoop)
s_add_u32 s[sgprOrigLoopCounter], s[sgprOrigLoopCounter], 0x4 // inc counterL
s_cmp_le_i32 s[sgprLoopCounterL], 0x0              // counterL<=0
s_cbranch_scc1 TailLoopEndL_7                      // exit LoopL


/* tail loop unroll iter 2 */


/* local read a */

_ds_load_b32 v[vgprValuA_X2_I0+0], v[vgprLocalReadAddrA] offset:0 // L -> Reg lro=0 swapByteOffset=0 ti=16 vIdx=0 rIdx=0 oIdx=0 buffer=2 iui=0
_ds_load_b32 v[vgprValuA_X2_I0+1], v[vgprLocalReadAddrA] offset:64 // L -> Reg lro=0 swapByteOffset=0 ti=16 vIdx=1 rIdx=0 oIdx=0 buffer=2 iui=0


/* local read b */


	;; [unrolled: 1-line block ×3, first 2 shown]
/* local read inc a */

s_mov_b32 s53, 0x300                               // inc
_v_add_co_u32 v[vgprLocalReadAddrA], vcc, s53, v[vgprLocalReadAddrA] // lrA += 768 (LSU*(MT+PAD)*bpe)


/* local read inc b */


s_waitcnt lgkmcnt(0)                               // lgkmcnt=0 vmcnt=-14wait for local read


v_mfma_f32_16x16x4_f32 a[0+0:3+0], v[vgprValuA_X2_I0+0+0+0], v[vgprG2LB+8+0], a[0:3]
v_mfma_f32_16x16x4_f32 a[4+0:7+0], v[vgprValuA_X2_I0+1+0+0], v[vgprG2LB+8+0], a[4:7]
	;; [unrolled: 1-line block ×8, first 2 shown]


/* closeLoop loopL finalLoop=0 tailLoop=1 */
s_sub_i32 s[sgprLoopCounterL], s[sgprLoopCounterL], 0x4 // dec counterL (tailLoop)
s_add_u32 s[sgprOrigLoopCounter], s[sgprOrigLoopCounter], 0x4 // inc counterL
s_cmp_le_i32 s[sgprLoopCounterL], 0x0              // counterL<=0
s_cbranch_scc1 TailLoopEndL_7                      // exit LoopL


/* tail loop unroll iter 3 */


/* local read a */

_ds_load_b32 v[vgprValuA_X3_I0+0], v[vgprLocalReadAddrA] offset:0 // L -> Reg lro=0 swapByteOffset=0 ti=16 vIdx=0 rIdx=0 oIdx=0 buffer=3 iui=0
_ds_load_b32 v[vgprValuA_X3_I0+1], v[vgprLocalReadAddrA] offset:64 // L -> Reg lro=0 swapByteOffset=0 ti=16 vIdx=1 rIdx=0 oIdx=0 buffer=3 iui=0


/* local read b */


	;; [unrolled: 1-line block ×3, first 2 shown]
/* local read inc a */

s_mov_b32 s53, 0x300                               // inc
_v_add_co_u32 v[vgprLocalReadAddrA], vcc, s53, v[vgprLocalReadAddrA] // lrA += 768 (LSU*(MT+PAD)*bpe)


/* local read inc b */


s_waitcnt lgkmcnt(0)                               // lgkmcnt=0 vmcnt=-14wait for local read


v_mfma_f32_16x16x4_f32 a[0+0:3+0], v[vgprValuA_X3_I0+0+0+0], v[vgprG2LB+12+0], a[0:3]
v_mfma_f32_16x16x4_f32 a[4+0:7+0], v[vgprValuA_X3_I0+1+0+0], v[vgprG2LB+12+0], a[4:7]
v_mfma_f32_16x16x4_f32 a[8+0:11+0], v[vgprValuA_X3_I0+0+0+0], v[vgprG2LB+13+0], a[8:11]
v_mfma_f32_16x16x4_f32 a[12+0:15+0], v[vgprValuA_X3_I0+1+0+0], v[vgprG2LB+13+0], a[12:15]
v_mfma_f32_16x16x4_f32 a[16+0:19+0], v[vgprValuA_X3_I0+0+0+0], v[vgprG2LB+14+0], a[16:19]
v_mfma_f32_16x16x4_f32 a[20+0:23+0], v[vgprValuA_X3_I0+1+0+0], v[vgprG2LB+14+0], a[20:23]
v_mfma_f32_16x16x4_f32 a[24+0:27+0], v[vgprValuA_X3_I0+0+0+0], v[vgprG2LB+15+0], a[24:27]
v_mfma_f32_16x16x4_f32 a[28+0:31+0], v[vgprValuA_X3_I0+1+0+0], v[vgprG2LB+15+0], a[28:31]


/* closeLoop loopL finalLoop=1 tailLoop=1 */
s_sub_i32 s[sgprLoopCounterL], s[sgprLoopCounterL], 0x4 // dec counterL (tailLoop)
s_add_u32 s[sgprOrigLoopCounter], s[sgprOrigLoopCounter], 0x4 // inc counterL
s_cmp_le_i32 s[sgprLoopCounterL], 0x0              // counterL<=0
s_cbranch_scc0 TailLoopBeginL_6                    // restart LoopL
TailLoopEndL_7:

SkipTailLoopL_8:

Summation_End_36:
/* endSummation: add vgpr [0...48) to pool */

/* Mapping of Acc register -> C Vgpr register */


/* shift vector components d0 */

v_mov_b32 v1, s[sgprWorkGroup0]                    // 
v_mul_i32_i24 v1, -0x20, v1                        // wg*MT
_v_add_co_u32 v1, vcc, s[sgprSizesFree+0], v1      // wgMT = Size - wg*MT
v_mov_b32 v2, 0x20                                 // MT
v_min_u32 v1, v2, v1                               // wgMT = (wgMT < MT) ? wgMT : MT
v_lshrrev_b32 v0, 6, v[vgprSerial]                 // v0 = v[vgprSerial] / 64
v_and_b32 v3, 0, v0                                // v3 = v0 % 1
v_lshrrev_b32 v0, 4, v1                            // v0 = v1 / 16
v_and_b32 v4, 0, v0                                // v4 = v0 % 1
v_cmp_eq_u32 s[54:55], v4, v3                      // wave_id == block_belong_to_wave?
v_cndmask_b32 v1, v2, v1, s[54:55]                 // wgMT = (wgMT < MT) ? wgMT : MT

/* mbReg: which mb block need to shift, mb(matrixInstCoal(16) * VectorWidth(1)) */
v_lshrrev_b32 v2, 4, v1                            // v2 = v1 / 16
v_lshlrev_b32 v4, 0x0, v3                          // v4 = v3 * 1
_v_sub_u32 v2, v2, v4                              // 

/* gbReg: glvw block id */
v_lshrrev_b32 v4, 1, v1                            // v4 = v1 / 2

/* tgbReg: glvw block id */
v_lshrrev_b32 v0, 4, v[vgprSerial]                 // v0 = v[vgprSerial] / 16
v_and_b32 v5, 3, v0                                // v5 = v0 % 4
v_lshlrev_b32 v5, 0x2, v5                          // v5 = v5 * 4
v_lshrrev_b32 v5, 1, v5                            // v5 = v5 / 2
v_lshlrev_b32 v3, 0x3, v3                          // v3 = v3 * 8
_v_add_co_u32 v5, vcc, v3, v5                      // tgbReg = (tid_coal * continOut) / GLVW
_v_sub_u32 v4, v4, v5                              // 

/* vwReg: glvw in which vw block? */
v_and_b32 v3, 3, v1                                // permute register between threads
v_lshrrev_b32 v3, 1, v3                            // permute register between threads

/* rReg : reminder of M_size % GlobalLoadVectorWidth */
v_and_b32 v5, 1, v1                                // v5 = v1 % 2
v_cmp_eq_u32 vcc, v5, 0x1                          // wgMT%VW == 1
s_cbranch_vccnz label_0037                         // branch to shift d0 r=1
s_branch label_0044                                // no shifting

/******************************************/
/* shift d0 r=1                           */
/******************************************/
label_0037:
v_cmp_eq_u32 vcc, v2, 0x0                          // 
s_cbranch_vccnz label_0038                         // branch to shift d0 r1 mb0
v_cmp_eq_u32 vcc, v2, 0x1                          // 
s_cbranch_vccnz label_0041                         // branch to shift d0 r1 mb1

/******************************************/
/* shift d0 r=1 mb=0                      */
/******************************************/
label_0038: // r1 mb0 
v_cmp_eq_u32 vcc, v3, 0x0                          // 
s_cbranch_vccnz label_0039                         // branch to shift d0 r1 mb0 vw0
v_cmp_eq_u32 vcc, v3, 0x1                          // 
s_cbranch_vccnz label_0040                         // branch to shift d0 r1 mb0 vw1

/******************************************/
/* shift d0 r=1 mb=1                      */
/******************************************/
label_0041: // r1 mb1 
v_cmp_eq_u32 vcc, v3, 0x0                          // 
s_cbranch_vccnz label_0042                         // branch to shift d0 r1 mb1 vw0
v_cmp_eq_u32 vcc, v3, 0x1                          // 
s_cbranch_vccnz label_0043                         // branch to shift d0 r1 mb1 vw1

/******************************************/
/* shift d0 r=1 mb=0 vw0                  */
/******************************************/
label_0039: // r1 mb0 vw0 
s_mov_b32 s54, 0                                   // 
_v_cmpx_eq_u32 s[54:55], v4, s54                   // is thread in edge glvw region
v_and_b32 v0, 63, v[vgprSerial]                    // permute register between threads
v_lshlrev_b32 v0, 2, v0                            // permute register between threads
v_accvgpr_read_b32 v5, acc1                        // glvw 1 mb 0 tt1 0 r 0
s_nop 1                                            // v_accvgpr read vgpr after write vgpr: 2 wait states
v_accvgpr_write_b32 acc0, v5                       // 
v_accvgpr_read_b32 v5, acc9                        // glvw 1 mb 0 tt1 1 r 0
s_nop 1                                            // v_accvgpr read vgpr after write vgpr: 2 wait states
v_accvgpr_write_b32 acc8, v5                       // 
v_accvgpr_read_b32 v5, acc17                       // glvw 1 mb 0 tt1 2 r 0
s_nop 1                                            // v_accvgpr read vgpr after write vgpr: 2 wait states
v_accvgpr_write_b32 acc16, v5                      // 
v_accvgpr_read_b32 v5, acc25                       // glvw 1 mb 0 tt1 3 r 0
s_nop 1                                            // v_accvgpr read vgpr after write vgpr: 2 wait states
v_accvgpr_write_b32 acc24, v5                      // 
s_mov_b64 s[54:55], 0xFFFFFFFFFFFFFFFF             // to restore all threads active
s_or_saveexec_b64 vcc, s[54:55]                    // all threads active
s_branch label_0044                                // done shifting


/******************************************/
/* shift d0 r=1 mb=0 vw1                  */
/******************************************/
label_0040: // r1 mb0 vw1 
s_mov_b32 s54, 1                                   // 
_v_cmpx_eq_u32 s[54:55], v4, s54                   // is thread in edge glvw region
v_and_b32 v0, 63, v[vgprSerial]                    // permute register between threads
v_lshlrev_b32 v0, 2, v0                            // permute register between threads
v_accvgpr_read_b32 v5, acc3                        // glvw 1 mb 0 tt1 0 r 0
s_nop 1                                            // v_accvgpr read vgpr after write vgpr: 2 wait states
v_accvgpr_write_b32 acc2, v5                       // 
v_accvgpr_read_b32 v5, acc11                       // glvw 1 mb 0 tt1 1 r 0
s_nop 1                                            // v_accvgpr read vgpr after write vgpr: 2 wait states
v_accvgpr_write_b32 acc10, v5                      // 
v_accvgpr_read_b32 v5, acc19                       // glvw 1 mb 0 tt1 2 r 0
s_nop 1                                            // v_accvgpr read vgpr after write vgpr: 2 wait states
v_accvgpr_write_b32 acc18, v5                      // 
v_accvgpr_read_b32 v5, acc27                       // glvw 1 mb 0 tt1 3 r 0
s_nop 1                                            // v_accvgpr read vgpr after write vgpr: 2 wait states
v_accvgpr_write_b32 acc26, v5                      // 
s_mov_b64 s[54:55], 0xFFFFFFFFFFFFFFFF             // to restore all threads active
s_or_saveexec_b64 vcc, s[54:55]                    // all threads active
s_branch label_0044                                // done shifting


/******************************************/
/* shift d0 r=1 mb=1 vw0                  */
/******************************************/
label_0042: // r1 mb1 vw0 
s_mov_b32 s54, 8                                   // 
_v_cmpx_eq_u32 s[54:55], v4, s54                   // is thread in edge glvw region
v_and_b32 v0, 63, v[vgprSerial]                    // permute register between threads
v_lshlrev_b32 v0, 2, v0                            // permute register between threads
v_accvgpr_read_b32 v5, acc5                        // glvw 1 mb 1 tt1 0 r 0
s_nop 1                                            // v_accvgpr read vgpr after write vgpr: 2 wait states
v_accvgpr_write_b32 acc4, v5                       // 
v_accvgpr_read_b32 v5, acc13                       // glvw 1 mb 1 tt1 1 r 0
s_nop 1                                            // v_accvgpr read vgpr after write vgpr: 2 wait states
v_accvgpr_write_b32 acc12, v5                      // 
v_accvgpr_read_b32 v5, acc21                       // glvw 1 mb 1 tt1 2 r 0
s_nop 1                                            // v_accvgpr read vgpr after write vgpr: 2 wait states
v_accvgpr_write_b32 acc20, v5                      // 
v_accvgpr_read_b32 v5, acc29                       // glvw 1 mb 1 tt1 3 r 0
s_nop 1                                            // v_accvgpr read vgpr after write vgpr: 2 wait states
v_accvgpr_write_b32 acc28, v5                      // 
s_mov_b64 s[54:55], 0xFFFFFFFFFFFFFFFF             // to restore all threads active
s_or_saveexec_b64 vcc, s[54:55]                    // all threads active
s_branch label_0044                                // done shifting


/******************************************/
/* shift d0 r=1 mb=1 vw1                  */
/******************************************/
label_0043: // r1 mb1 vw1 
s_mov_b32 s54, 9                                   // 
_v_cmpx_eq_u32 s[54:55], v4, s54                   // is thread in edge glvw region
v_and_b32 v0, 63, v[vgprSerial]                    // permute register between threads
v_lshlrev_b32 v0, 2, v0                            // permute register between threads
v_accvgpr_read_b32 v5, acc7                        // glvw 1 mb 1 tt1 0 r 0
s_nop 1                                            // v_accvgpr read vgpr after write vgpr: 2 wait states
v_accvgpr_write_b32 acc6, v5                       // 
v_accvgpr_read_b32 v5, acc15                       // glvw 1 mb 1 tt1 1 r 0
s_nop 1                                            // v_accvgpr read vgpr after write vgpr: 2 wait states
v_accvgpr_write_b32 acc14, v5                      // 
v_accvgpr_read_b32 v5, acc23                       // glvw 1 mb 1 tt1 2 r 0
s_nop 1                                            // v_accvgpr read vgpr after write vgpr: 2 wait states
v_accvgpr_write_b32 acc22, v5                      // 
v_accvgpr_read_b32 v5, acc31                       // glvw 1 mb 1 tt1 3 r 0
s_nop 1                                            // v_accvgpr read vgpr after write vgpr: 2 wait states
v_accvgpr_write_b32 acc30, v5                      // 
s_mov_b64 s[54:55], 0xFFFFFFFFFFFFFFFF             // to restore all threads active
s_or_saveexec_b64 vcc, s[54:55]                    // all threads active
s_branch label_0044                                // done shifting

label_0044: // end shift0


/* shift vector components d1 */

v_mov_b32 v1, s[sgprWorkGroup1]                    // 
v_mul_i32_i24 v1, -0x100, v1                       // wg*MT
_v_add_co_u32 v1, vcc, s[sgprSizesFree+1], v1      // wgMT = Size - wg*MT
v_mov_b32 v2, 0x100                                // MT
v_min_u32 v1, v2, v1                               // wgMT = (wgMT < MT) ? wgMT : MT
v_lshrrev_b32 v0, 6, v[vgprSerial]                 // v0 = v[vgprSerial] / 64
v_and_b32 v3, 3, v0                                // v3 = v0 % 4
v_lshrrev_b32 v0, 6, v1                            // v0 = v1 / 64
v_and_b32 v4, 3, v0                                // v4 = v0 % 4
v_cmp_eq_u32 s[54:55], v4, v3                      // wave_id == block_belong_to_wave?
v_cndmask_b32 v1, v2, v1, s[54:55]                 // wgMT = (wgMT < MT) ? wgMT : MT

/* mbReg: which mb block need to shift, mb(matrixInstCoal(16) * VectorWidth(4)) */
v_lshrrev_b32 v2, 6, v1                            // v2 = v1 / 64
v_lshlrev_b32 v4, 0x0, v3                          // v4 = v3 * 1
_v_sub_u32 v2, v2, v4                              // 

/* gbReg: glvw block id */
v_lshrrev_b32 v4, 2, v1                            // v4 = v1 / 4

/* tgbReg: glvw block id */
v_lshrrev_b32 v0, 0, v[vgprSerial]                 // v0 = v[vgprSerial] / 1
v_and_b32 v5, 15, v0                               // v5 = v0 % 16
v_lshlrev_b32 v5, 0x2, v5                          // v5 = v5 * 4
v_lshrrev_b32 v5, 2, v5                            // v5 = v5 / 4
v_lshlrev_b32 v3, 0x4, v3                          // v3 = v3 * 16
_v_add_co_u32 v5, vcc, v3, v5                      // tgbReg = (tid_coal * continOut) / GLVW
_v_sub_u32 v4, v4, v5                              // 

/* vwReg: glvw in which vw block? */
v_and_b32 v3, 3, v1                                // permute register between threads
v_lshrrev_b32 v3, 2, v3                            // permute register between threads

/* rReg : reminder of M_size % GlobalLoadVectorWidth */
v_and_b32 v5, 3, v1                                // v5 = v1 % 4
v_cmp_eq_u32 vcc, v5, 0x1                          // wgMT%VW == 1
s_cbranch_vccnz label_0051                         // branch to shift d1 r=1
v_cmp_eq_u32 vcc, v5, 0x2                          // wgMT%VW == 2
s_cbranch_vccnz label_0054                         // branch to shift d1 r=2
v_cmp_eq_u32 vcc, v5, 0x3                          // wgMT%VW == 3
s_cbranch_vccnz label_0057                         // branch to shift d1 r=3
s_branch label_0060                                // no shifting

/******************************************/
/* shift d1 r=1                           */
/******************************************/
label_0051:
v_cmp_eq_u32 vcc, v2, 0x0                          // 
s_cbranch_vccnz label_0052                         // branch to shift d1 r1 mb0

/******************************************/
/* shift d1 r=2                           */
/******************************************/
label_0054:
v_cmp_eq_u32 vcc, v2, 0x0                          // 
s_cbranch_vccnz label_0055                         // branch to shift d1 r2 mb0

/******************************************/
/* shift d1 r=3                           */
/******************************************/
label_0057:
v_cmp_eq_u32 vcc, v2, 0x0                          // 
s_cbranch_vccnz label_0058                         // branch to shift d1 r3 mb0

/******************************************/
/* shift d1 r=1 mb=0                      */
/******************************************/
label_0052: // r1 mb0 
v_cmp_eq_u32 vcc, v3, 0x0                          // 
s_cbranch_vccnz label_0053                         // branch to shift d1 r1 mb0 vw0

/******************************************/
/* shift d1 r=2 mb=0                      */
/******************************************/
label_0055: // r2 mb0 
v_cmp_eq_u32 vcc, v3, 0x0                          // 
s_cbranch_vccnz label_0056                         // branch to shift d1 r2 mb0 vw0

/******************************************/
/* shift d1 r=3 mb=0                      */
/******************************************/
label_0058: // r3 mb0 
v_cmp_eq_u32 vcc, v3, 0x0                          // 
s_cbranch_vccnz label_0059                         // branch to shift d1 r3 mb0 vw0

/******************************************/
/* shift d1 r=1 mb=0 vw0                  */
/******************************************/
label_0053: // r1 mb0 vw0 
s_mov_b32 s54, 0                                   // 
_v_cmpx_eq_u32 s[54:55], v4, s54                   // is thread in edge glvw region
v_and_b32 v0, 63, v[vgprSerial]                    // permute register between threads
v_lshlrev_b32 v0, 2, v0                            // permute register between threads
v_accvgpr_read_b32 v5, acc24                       // glvw 1 mb 0 tt1 0 r 0
s_nop 1                                            // v_accvgpr read vgpr after write vgpr: 2 wait states
v_accvgpr_write_b32 acc0, v5                       // 
v_accvgpr_read_b32 v5, acc25                       // glvw 1 mb 0 tt1 1 r 0
s_nop 1                                            // v_accvgpr read vgpr after write vgpr: 2 wait states
v_accvgpr_write_b32 acc1, v5                       // 
v_accvgpr_read_b32 v5, acc26                       // glvw 1 mb 0 tt1 2 r 0
s_nop 1                                            // v_accvgpr read vgpr after write vgpr: 2 wait states
v_accvgpr_write_b32 acc2, v5                       // 
v_accvgpr_read_b32 v5, acc27                       // glvw 1 mb 0 tt1 3 r 0
s_nop 1                                            // v_accvgpr read vgpr after write vgpr: 2 wait states
v_accvgpr_write_b32 acc3, v5                       // 
v_accvgpr_read_b32 v5, acc28                       // glvw 1 mb 0 tt1 4 r 0
s_nop 1                                            // v_accvgpr read vgpr after write vgpr: 2 wait states
v_accvgpr_write_b32 acc4, v5                       // 
v_accvgpr_read_b32 v5, acc29                       // glvw 1 mb 0 tt1 5 r 0
s_nop 1                                            // v_accvgpr read vgpr after write vgpr: 2 wait states
v_accvgpr_write_b32 acc5, v5                       // 
v_accvgpr_read_b32 v5, acc30                       // glvw 1 mb 0 tt1 6 r 0
s_nop 1                                            // v_accvgpr read vgpr after write vgpr: 2 wait states
v_accvgpr_write_b32 acc6, v5                       // 
v_accvgpr_read_b32 v5, acc31                       // glvw 1 mb 0 tt1 7 r 0
s_nop 1                                            // v_accvgpr read vgpr after write vgpr: 2 wait states
v_accvgpr_write_b32 acc7, v5                       // 
s_mov_b64 s[54:55], 0xFFFFFFFFFFFFFFFF             // to restore all threads active
s_or_saveexec_b64 vcc, s[54:55]                    // all threads active
s_branch label_0060                                // done shifting


/******************************************/
/* shift d1 r=2 mb=0 vw0                  */
/******************************************/
label_0056: // r2 mb0 vw0 
s_mov_b32 s54, 0                                   // 
_v_cmpx_eq_u32 s[54:55], v4, s54                   // is thread in edge glvw region
v_and_b32 v0, 63, v[vgprSerial]                    // permute register between threads
v_lshlrev_b32 v0, 2, v0                            // permute register between threads
v_accvgpr_read_b32 v5, acc16                       // glvw 2 mb 0 tt1 0 r 0
v_accvgpr_read_b32 v6, acc24                       // glvw 2 mb 0 tt1 0 r 0
s_nop 1                                            // v_accvgpr read vgpr after write vgpr: 2 wait states
v_accvgpr_write_b32 acc0, v5                       // 
v_accvgpr_write_b32 acc8, v6                       // 
v_accvgpr_read_b32 v5, acc17                       // glvw 2 mb 0 tt1 1 r 0
v_accvgpr_read_b32 v6, acc25                       // glvw 2 mb 0 tt1 1 r 0
s_nop 1                                            // v_accvgpr read vgpr after write vgpr: 2 wait states
v_accvgpr_write_b32 acc1, v5                       // 
v_accvgpr_write_b32 acc9, v6                       // 
v_accvgpr_read_b32 v5, acc18                       // glvw 2 mb 0 tt1 2 r 0
v_accvgpr_read_b32 v6, acc26                       // glvw 2 mb 0 tt1 2 r 0
s_nop 1                                            // v_accvgpr read vgpr after write vgpr: 2 wait states
v_accvgpr_write_b32 acc2, v5                       // 
v_accvgpr_write_b32 acc10, v6                      // 
v_accvgpr_read_b32 v5, acc19                       // glvw 2 mb 0 tt1 3 r 0
v_accvgpr_read_b32 v6, acc27                       // glvw 2 mb 0 tt1 3 r 0
s_nop 1                                            // v_accvgpr read vgpr after write vgpr: 2 wait states
v_accvgpr_write_b32 acc3, v5                       // 
v_accvgpr_write_b32 acc11, v6                      // 
v_accvgpr_read_b32 v5, acc20                       // glvw 2 mb 0 tt1 4 r 0
v_accvgpr_read_b32 v6, acc28                       // glvw 2 mb 0 tt1 4 r 0
s_nop 1                                            // v_accvgpr read vgpr after write vgpr: 2 wait states
v_accvgpr_write_b32 acc4, v5                       // 
v_accvgpr_write_b32 acc12, v6                      // 
v_accvgpr_read_b32 v5, acc21                       // glvw 2 mb 0 tt1 5 r 0
v_accvgpr_read_b32 v6, acc29                       // glvw 2 mb 0 tt1 5 r 0
s_nop 1                                            // v_accvgpr read vgpr after write vgpr: 2 wait states
v_accvgpr_write_b32 acc5, v5                       // 
v_accvgpr_write_b32 acc13, v6                      // 
v_accvgpr_read_b32 v5, acc22                       // glvw 2 mb 0 tt1 6 r 0
v_accvgpr_read_b32 v6, acc30                       // glvw 2 mb 0 tt1 6 r 0
s_nop 1                                            // v_accvgpr read vgpr after write vgpr: 2 wait states
v_accvgpr_write_b32 acc6, v5                       // 
v_accvgpr_write_b32 acc14, v6                      // 
v_accvgpr_read_b32 v5, acc23                       // glvw 2 mb 0 tt1 7 r 0
v_accvgpr_read_b32 v6, acc31                       // glvw 2 mb 0 tt1 7 r 0
s_nop 1                                            // v_accvgpr read vgpr after write vgpr: 2 wait states
v_accvgpr_write_b32 acc7, v5                       // 
v_accvgpr_write_b32 acc15, v6                      // 
s_mov_b64 s[54:55], 0xFFFFFFFFFFFFFFFF             // to restore all threads active
s_or_saveexec_b64 vcc, s[54:55]                    // all threads active
s_branch label_0060                                // done shifting


/******************************************/
/* shift d1 r=3 mb=0 vw0                  */
/******************************************/
label_0059: // r3 mb0 vw0 
s_mov_b32 s54, 0                                   // 
_v_cmpx_eq_u32 s[54:55], v4, s54                   // is thread in edge glvw region
v_and_b32 v0, 63, v[vgprSerial]                    // permute register between threads
v_lshlrev_b32 v0, 2, v0                            // permute register between threads
v_accvgpr_read_b32 v5, acc8                        // glvw 3 mb 0 tt1 0 r 0
v_accvgpr_read_b32 v6, acc16                       // glvw 3 mb 0 tt1 0 r 0
v_accvgpr_read_b32 v7, acc24                       // glvw 3 mb 0 tt1 0 r 0
s_nop 1                                            // v_accvgpr read vgpr after write vgpr: 2 wait states
v_accvgpr_write_b32 acc0, v5                       // 
v_accvgpr_write_b32 acc8, v6                       // 
v_accvgpr_write_b32 acc16, v7                      // 
v_accvgpr_read_b32 v5, acc9                        // glvw 3 mb 0 tt1 1 r 0
v_accvgpr_read_b32 v6, acc17                       // glvw 3 mb 0 tt1 1 r 0
v_accvgpr_read_b32 v7, acc25                       // glvw 3 mb 0 tt1 1 r 0
s_nop 1                                            // v_accvgpr read vgpr after write vgpr: 2 wait states
v_accvgpr_write_b32 acc1, v5                       // 
v_accvgpr_write_b32 acc9, v6                       // 
v_accvgpr_write_b32 acc17, v7                      // 
v_accvgpr_read_b32 v5, acc10                       // glvw 3 mb 0 tt1 2 r 0
v_accvgpr_read_b32 v6, acc18                       // glvw 3 mb 0 tt1 2 r 0
v_accvgpr_read_b32 v7, acc26                       // glvw 3 mb 0 tt1 2 r 0
s_nop 1                                            // v_accvgpr read vgpr after write vgpr: 2 wait states
v_accvgpr_write_b32 acc2, v5                       // 
v_accvgpr_write_b32 acc10, v6                      // 
v_accvgpr_write_b32 acc18, v7                      // 
v_accvgpr_read_b32 v5, acc11                       // glvw 3 mb 0 tt1 3 r 0
v_accvgpr_read_b32 v6, acc19                       // glvw 3 mb 0 tt1 3 r 0
v_accvgpr_read_b32 v7, acc27                       // glvw 3 mb 0 tt1 3 r 0
s_nop 1                                            // v_accvgpr read vgpr after write vgpr: 2 wait states
v_accvgpr_write_b32 acc3, v5                       // 
v_accvgpr_write_b32 acc11, v6                      // 
v_accvgpr_write_b32 acc19, v7                      // 
v_accvgpr_read_b32 v5, acc12                       // glvw 3 mb 0 tt1 4 r 0
v_accvgpr_read_b32 v6, acc20                       // glvw 3 mb 0 tt1 4 r 0
v_accvgpr_read_b32 v7, acc28                       // glvw 3 mb 0 tt1 4 r 0
s_nop 1                                            // v_accvgpr read vgpr after write vgpr: 2 wait states
v_accvgpr_write_b32 acc4, v5                       // 
v_accvgpr_write_b32 acc12, v6                      // 
v_accvgpr_write_b32 acc20, v7                      // 
v_accvgpr_read_b32 v5, acc13                       // glvw 3 mb 0 tt1 5 r 0
v_accvgpr_read_b32 v6, acc21                       // glvw 3 mb 0 tt1 5 r 0
v_accvgpr_read_b32 v7, acc29                       // glvw 3 mb 0 tt1 5 r 0
s_nop 1                                            // v_accvgpr read vgpr after write vgpr: 2 wait states
v_accvgpr_write_b32 acc5, v5                       // 
v_accvgpr_write_b32 acc13, v6                      // 
v_accvgpr_write_b32 acc21, v7                      // 
v_accvgpr_read_b32 v5, acc14                       // glvw 3 mb 0 tt1 6 r 0
v_accvgpr_read_b32 v6, acc22                       // glvw 3 mb 0 tt1 6 r 0
v_accvgpr_read_b32 v7, acc30                       // glvw 3 mb 0 tt1 6 r 0
s_nop 1                                            // v_accvgpr read vgpr after write vgpr: 2 wait states
v_accvgpr_write_b32 acc6, v5                       // 
v_accvgpr_write_b32 acc14, v6                      // 
v_accvgpr_write_b32 acc22, v7                      // 
v_accvgpr_read_b32 v5, acc15                       // glvw 3 mb 0 tt1 7 r 0
v_accvgpr_read_b32 v6, acc23                       // glvw 3 mb 0 tt1 7 r 0
v_accvgpr_read_b32 v7, acc31                       // glvw 3 mb 0 tt1 7 r 0
s_nop 1                                            // v_accvgpr read vgpr after write vgpr: 2 wait states
v_accvgpr_write_b32 acc7, v5                       // 
v_accvgpr_write_b32 acc15, v6                      // 
v_accvgpr_write_b32 acc23, v7                      // 
s_mov_b64 s[54:55], 0xFFFFFFFFFFFFFFFF             // to restore all threads active
s_or_saveexec_b64 vcc, s[54:55]                    // all threads active
s_branch label_0060                                // done shifting

label_0060: // end shift0


	;; [unrolled: 1-line block ×3, first 2 shown]
/* not-LocalSplitU: global write indices */

/* computeStoreVgprs */
v_lshrrev_b32 v4, 6, v[vgprSerial]                 // v4 = v[vgprSerial] / 64
v_lshrrev_b32 v1, 0, v4                            // v1 = v4 / 1
v_mul_lo_u32 v1, 0x10, v1                          // wave coordination offset 1
v_and_b32 v5, 15, v[vgprSerial]                    // v5 = v[vgprSerial] % 16
_v_add_lshl_u32 v1, v5, v1, 2                      // coordination 1 = vwb *(wave_id1 + tid1)
v_mul_lo_u32 v2, v1, s[sgprStrideC1J]              //  offset 1
v_mul_lo_u32 v3, v1, s[sgprStrideD1J]              //  offset 1
v_and_b32 v0, 63, v[vgprSerial]                    // v0 = v[vgprSerial] % 64
v_lshrrev_b32 v0, 4, v0                            // v0 = v0 / 16
v_lshlrev_b32 v0, 0x2, v0                          // thread0 * continuous_output
v_and_b32 v5, 0, v4                                // v5 = v4 % 1
v_mul_lo_u32 v5, 0x10, v5                          // wave coordination offset 0
_v_add_lshl_u32 v0, v5, v0, 0                      // coordination 0 = vwa *(wave_id0 + tid0)
s_mul_i32 s53, 32, s[sgprWorkGroup0]               // wgp0 * MT0
_v_add_u32 v0, s53, v0                             // coord 0 = (tid0/MI_m)*4 + waveG0*MIB_m + MT0*SG0
s_mul_i32 s53, 256, s[sgprWorkGroup1]              // wgp1 * MT1
_v_add_u32 v1, s53, v1                             // coord 1 = (tid0%MI_m) + waveG1*MIB_n + MT1*SG1


/* not-LocalSplitU: global write */

s_cmpk_eq_u32 s[sgprBeta], 0x0                     // Beta == 0
s_cbranch_scc0 GW_Beta_77                          // Branch if Beta is not zero

s_and_b32 s54, 31, s[sgprSizeI]                    // s54 = s[sgprSizeI] % 32
s_add_u32 s55, -0x1, s[sgprNumWorkGroups0]         // 
s_cmp_ge_u32 s[sgprWorkGroup0], s55                // wg0 >= nwg0-1 ?
s_cselect_b32 s54, s54, 0                          // set rMT0
s_cmpk_gt_u32 s54, 0x0                             // rMT0 > 0
s_cbranch_scc1 GW_B0_E1_68                         // jump if edges required
s_and_b32 s54, 255, s[sgprSizeJ]                   // s54 = s[sgprSizeJ] % 256
s_add_u32 s55, -0x1, s[sgprNumWorkGroups1]         // 
s_cmp_ge_u32 s[sgprWorkGroup1], s55                // wg1 >= nwg1-1
s_cselect_b32 s54, s54, 0                          // set rMT1
s_cmpk_gt_u32 s54, 0x0                             // rMT1 > 0
s_cbranch_scc1 GW_B0_E1_68                         // jump if edges required
GW_B0_E0_65:

/* edge=0, allocate 2 sgpr. perBatchTmpS=2 perBatchMaskS=0 perElementMaskS=0 elementsPerBatch=13 */
/* optSingleColVgpr=1 optSharedColVgpr=0 optSGPRUsage=BufferLoad_Mask optSrdIncForRow=1 */

/******************************************/
/* Global Write Alpha Batch #0 (d1,d0,vc1,vc0) = */
/*    (0,0,0,0:vw4); (0,1,0,0:vw4); (0,0,1,0:vw4); (0,1,1,0:vw4); (0,0,2,0:vw4); (0,1,2,0:vw4); (0,0,3,0:vw4); (0,1,3,0:vw4) */
/******************************************/

/* calc coords, apply mask, and issue loads (if necessary) */
/* (d1,vc1,d0,vc0)=(0,0,0,0) */
/* (d1,vc1,d0,vc0)=(0,0,1,0) */
	;; [unrolled: 1-line block ×8, first 2 shown]
_v_add_lshl_u32 v6, v3, v0, 0x2                    // optSingleColVgpr scaleToBpe: sharedAddrVgpr <- cinRowPtr + coord0, scaled by BPE. BSHERE:coord0=0, coord0Vgpr=0
v_accvgpr_read_b32 v[vgprValuC+8], acc0 // copy acc to vreg[0]
v_accvgpr_read_b32 v[vgprValuC+9], acc1 // copy acc to vreg[1]
v_accvgpr_read_b32 v[vgprValuC+10], acc2 // copy acc to vreg[2]
v_accvgpr_read_b32 v[vgprValuC+11], acc3 // copy acc to vreg[3]
v_accvgpr_read_b32 v[vgprValuC+12], acc4 // copy acc to vreg[4]
v_accvgpr_read_b32 v[vgprValuC+13], acc5 // copy acc to vreg[5]
v_accvgpr_read_b32 v[vgprValuC+14], acc6 // copy acc to vreg[6]
v_accvgpr_read_b32 v[vgprValuC+15], acc7 // copy acc to vreg[7]
v_accvgpr_read_b32 v[vgprValuC+16], acc8 // copy acc to vreg[8]
v_accvgpr_read_b32 v[vgprValuC+17], acc9 // copy acc to vreg[9]
v_accvgpr_read_b32 v[vgprValuC+18], acc10 // copy acc to vreg[10]
v_accvgpr_read_b32 v[vgprValuC+19], acc11 // copy acc to vreg[11]
v_accvgpr_read_b32 v[vgprValuC+20], acc12 // copy acc to vreg[12]
v_accvgpr_read_b32 v[vgprValuC+21], acc13 // copy acc to vreg[13]
v_accvgpr_read_b32 v[vgprValuC+22], acc14 // copy acc to vreg[14]
v_accvgpr_read_b32 v[vgprValuC+23], acc15 // copy acc to vreg[15]
v_accvgpr_read_b32 v[vgprValuC+24], acc16 // copy acc to vreg[16]
v_accvgpr_read_b32 v[vgprValuC+25], acc17 // copy acc to vreg[17]
v_accvgpr_read_b32 v[vgprValuC+26], acc18 // copy acc to vreg[18]
v_accvgpr_read_b32 v[vgprValuC+27], acc19 // copy acc to vreg[19]
v_accvgpr_read_b32 v[vgprValuC+28], acc20 // copy acc to vreg[20]
v_accvgpr_read_b32 v[vgprValuC+29], acc21 // copy acc to vreg[21]
v_accvgpr_read_b32 v[vgprValuC+30], acc22 // copy acc to vreg[22]
v_accvgpr_read_b32 v[vgprValuC+31], acc23 // copy acc to vreg[23]
v_accvgpr_read_b32 v[vgprValuC+32], acc24 // copy acc to vreg[24]
v_accvgpr_read_b32 v[vgprValuC+33], acc25 // copy acc to vreg[25]
v_accvgpr_read_b32 v[vgprValuC+34], acc26 // copy acc to vreg[26]
v_accvgpr_read_b32 v[vgprValuC+35], acc27 // copy acc to vreg[27]
v_accvgpr_read_b32 v[vgprValuC+36], acc28 // copy acc to vreg[28]
v_accvgpr_read_b32 v[vgprValuC+37], acc29 // copy acc to vreg[29]
v_accvgpr_read_b32 v[vgprValuC+38], acc30 // copy acc to vreg[30]
v_accvgpr_read_b32 v[vgprValuC+39], acc31 // copy acc to vreg[31]
s_nop 1                                            // 2 wait states required before reading vgpr

/* rC *= alpha batchElements=[(0, 0, 0, 0), (0, 1, 0, 0), (0, 0, 1, 0), (0, 1, 1, 0), (0, 0, 2, 0), (0, 1, 2, 0), (0, 0, 3, 0), (0, 1, 3, 0)] */
v_mul_f32 v[vgprValuC+8], s[sgprAlpha], v[vgprValuC+8] // *= alpha
v_mul_f32 v[vgprValuC+9], s[sgprAlpha], v[vgprValuC+9] // *= alpha
	;; [unrolled: 1-line block ×32, first 2 shown]

/* apply mask, calc new C and issue writes */
_buffer_store_b128 v[8:11], v6, s[sgprSrdD:sgprSrdD+3], 0, offen, offset:0 // store D
_buffer_store_b128 v[12:15], v6, s[sgprSrdD:sgprSrdD+3], 0, offen, offset:64 // store D
s_lshl_b32  s54, s[sgprStrideD1J], 2               // incToNextRow: Scale by BPE
s_add_u32  s[sgprSrdD+0], s[sgprSrdD+0], s54       // incToNextRow: gra SRD += inc(lower)
s_addc_u32  s[sgprSrdD+1], s[sgprSrdD+1], 0        // incToNextRow: gra SRD += inc(upper)
_buffer_store_b128 v[16:19], v6, s[sgprSrdD:sgprSrdD+3], 0, offen, offset:0 // store D
_buffer_store_b128 v[20:23], v6, s[sgprSrdD:sgprSrdD+3], 0, offen, offset:64 // store D
s_lshl_b32  s54, s[sgprStrideD1J], 2               // incToNextRow: Scale by BPE
s_add_u32  s[sgprSrdD+0], s[sgprSrdD+0], s54       // incToNextRow: gra SRD += inc(lower)
s_addc_u32  s[sgprSrdD+1], s[sgprSrdD+1], 0        // incToNextRow: gra SRD += inc(upper)
	;; [unrolled: 5-line block ×3, first 2 shown]
_buffer_store_b128 v[32:35], v6, s[sgprSrdD:sgprSrdD+3], 0, offen, offset:0 // store D
_buffer_store_b128 v[36:39], v6, s[sgprSrdD:sgprSrdD+3], 0, offen, offset:64 // store D
s_nop 0                                            // 1 wait state required when next inst writes vgprs held by previous dwordx4 store inst
s_branch label_GW_End_76                           // jump to end
GW_B0_E1_68:

/* edge=1, allocate 6 sgpr. perBatchTmpS=4 perBatchMaskS=2 perElementMaskS=0 elementsPerBatch=28 */
/* optSingleColVgpr=0 optSharedColVgpr=0 optSGPRUsage=BufferLoad_Edge_Mask optSrdIncForRow=0 */

/******************************************/
/* Global Write Alpha Edge Batch #0 (d1,d0,vc1,vc0) = */
/*    (0,0,0,0:vw1); (0,0,0,1:vw1); (0,0,0,2:vw1); (0,0,0,3:vw1); (0,1,0,0:vw1); (0,1,0,1:vw1); (0,1,0,2:vw1); (0,1,0,3:vw1); (0,0,1,0:vw1); (0,0,1,1:vw1); (0,0,1,2:vw1); (0,0,1,3:vw1); (0,1,1,0:vw1); (0,1,1,1:vw1); (0,1,1,2:vw1); (0,1,1,3:vw1); (0,0,2,0:vw1); (0,0,2,1:vw1); (0,0,2,2:vw1); (0,0,2,3:vw1); (0,1,2,0:vw1); (0,1,2,1:vw1); (0,1,2,2:vw1); (0,1,2,3:vw1); (0,0,3,0:vw1); (0,0,3,1:vw1); (0,0,3,2:vw1); (0,0,3,3:vw1) */
/******************************************/

/* calc coords, apply mask, and issue loads (if necessary) */
/* (d1,vc1,d0,vc0)=(0,0,0,0) */
v_cmp_lt_u32 s[54:55], v0, s[sgprSizeI]            // coord0 < size0
v_cmp_lt_u32 s[58:59], v1, s[sgprSizeJ]            // coord1 < size1
s_and_b64 s[58:59], s[54:55], s[58:59]             // in0 && in1
_v_add_lshl_u32 v6, v3, v0, 0x2                    // scaleToBpe: accumulate d0 lower and *= bpe into Cin addr
v_cndmask_b32 v6, -1, v6, s[58:59]                 // LDD clip if OOB. offset
/* (d1,vc1,d0,vc0)=(0,0,0,1) */
_v_add_co_u32 v4, vcc, v0, 1                       // coord0.1: coord0 += d0*sg0*VW + vc0
v_cmp_lt_u32 s[54:55], v4, s[sgprSizeI]            // coord0 < size0
v_cmp_lt_u32 s[58:59], v1, s[sgprSizeJ]            // coord1 < size1
s_and_b64 s[58:59], s[54:55], s[58:59]             // in0 && in1
_v_add_lshl_u32 v8, v3, v4, 0x2                    // scaleToBpe: accumulate d0 lower and *= bpe into Cin addr
v_cndmask_b32 v8, -1, v8, s[58:59]                 // LDD clip if OOB. offset
/* (d1,vc1,d0,vc0)=(0,0,0,2) */
_v_add_co_u32 v4, vcc, v0, 2                       // coord0.1: coord0 += d0*sg0*VW + vc0
v_cmp_lt_u32 s[54:55], v4, s[sgprSizeI]            // coord0 < size0
v_cmp_lt_u32 s[58:59], v1, s[sgprSizeJ]            // coord1 < size1
s_and_b64 s[58:59], s[54:55], s[58:59]             // in0 && in1
_v_add_lshl_u32 v10, v3, v4, 0x2                   // scaleToBpe: accumulate d0 lower and *= bpe into Cin addr
v_cndmask_b32 v10, -1, v10, s[58:59]               // LDD clip if OOB. offset
/* (d1,vc1,d0,vc0)=(0,0,0,3) */
_v_add_co_u32 v4, vcc, v0, 3                       // coord0.1: coord0 += d0*sg0*VW + vc0
v_cmp_lt_u32 s[54:55], v4, s[sgprSizeI]            // coord0 < size0
v_cmp_lt_u32 s[58:59], v1, s[sgprSizeJ]            // coord1 < size1
s_and_b64 s[58:59], s[54:55], s[58:59]             // in0 && in1
_v_add_lshl_u32 v12, v3, v4, 0x2                   // scaleToBpe: accumulate d0 lower and *= bpe into Cin addr
v_cndmask_b32 v12, -1, v12, s[58:59]               // LDD clip if OOB. offset
/* (d1,vc1,d0,vc0)=(0,0,1,0) */
_v_add_co_u32 v4, vcc, v0, 16                      // coord0.1: coord0 += d0*sg0*VW + vc0
v_cmp_lt_u32 s[54:55], v4, s[sgprSizeI]            // coord0 < size0
v_cmp_lt_u32 s[58:59], v1, s[sgprSizeJ]            // coord1 < size1
s_and_b64 s[58:59], s[54:55], s[58:59]             // in0 && in1
_v_add_lshl_u32 v14, v3, v4, 0x2                   // scaleToBpe: accumulate d0 lower and *= bpe into Cin addr
v_cndmask_b32 v14, -1, v14, s[58:59]               // LDD clip if OOB. offset
/* (d1,vc1,d0,vc0)=(0,0,1,1) */
_v_add_co_u32 v4, vcc, v0, 17                      // coord0.1: coord0 += d0*sg0*VW + vc0
v_cmp_lt_u32 s[54:55], v4, s[sgprSizeI]            // coord0 < size0
v_cmp_lt_u32 s[58:59], v1, s[sgprSizeJ]            // coord1 < size1
s_and_b64 s[58:59], s[54:55], s[58:59]             // in0 && in1
_v_add_lshl_u32 v16, v3, v4, 0x2                   // scaleToBpe: accumulate d0 lower and *= bpe into Cin addr
v_cndmask_b32 v16, -1, v16, s[58:59]               // LDD clip if OOB. offset
/* (d1,vc1,d0,vc0)=(0,0,1,2) */
_v_add_co_u32 v4, vcc, v0, 18                      // coord0.1: coord0 += d0*sg0*VW + vc0
v_cmp_lt_u32 s[54:55], v4, s[sgprSizeI]            // coord0 < size0
v_cmp_lt_u32 s[58:59], v1, s[sgprSizeJ]            // coord1 < size1
s_and_b64 s[58:59], s[54:55], s[58:59]             // in0 && in1
_v_add_lshl_u32 v18, v3, v4, 0x2                   // scaleToBpe: accumulate d0 lower and *= bpe into Cin addr
v_cndmask_b32 v18, -1, v18, s[58:59]               // LDD clip if OOB. offset
/* (d1,vc1,d0,vc0)=(0,0,1,3) */
_v_add_co_u32 v4, vcc, v0, 19                      // coord0.1: coord0 += d0*sg0*VW + vc0
v_cmp_lt_u32 s[54:55], v4, s[sgprSizeI]            // coord0 < size0
v_cmp_lt_u32 s[58:59], v1, s[sgprSizeJ]            // coord1 < size1
s_and_b64 s[58:59], s[54:55], s[58:59]             // in0 && in1
_v_add_lshl_u32 v20, v3, v4, 0x2                   // scaleToBpe: accumulate d0 lower and *= bpe into Cin addr
v_cndmask_b32 v20, -1, v20, s[58:59]               // LDD clip if OOB. offset
/* (d1,vc1,d0,vc0)=(0,1,0,0) */
_v_add_co_u32 v1, vcc, v1, 1                       // coord1.1: coord1Vgpr += d1*sg1*VW + vc1

/* Fix for UseInitialStridesCD, emitAddressSetupCode */
_v_add_u32 v2, v2, s[sgprStrideC1J]                // ROWINC- Move cinRowPtr to next row
_v_add_u32 v3, v3, s[sgprStrideD1J]                // Move coutRowPtr to next row
v_cmp_lt_u32 s[54:55], v0, s[sgprSizeI]            // coord0 < size0
v_cmp_lt_u32 s[58:59], v1, s[sgprSizeJ]            // coord1 < size1
s_and_b64 s[58:59], s[54:55], s[58:59]             // in0 && in1
_v_add_lshl_u32 v22, v3, v0, 0x2                   // scaleToBpe: accumulate d0 lower and *= bpe into Cin addr
v_cndmask_b32 v22, -1, v22, s[58:59]               // LDD clip if OOB. offset
/* (d1,vc1,d0,vc0)=(0,1,0,1) */
_v_add_co_u32 v4, vcc, v0, 1                       // coord0.1: coord0 += d0*sg0*VW + vc0
v_cmp_lt_u32 s[54:55], v4, s[sgprSizeI]            // coord0 < size0
v_cmp_lt_u32 s[58:59], v1, s[sgprSizeJ]            // coord1 < size1
s_and_b64 s[58:59], s[54:55], s[58:59]             // in0 && in1
_v_add_lshl_u32 v24, v3, v4, 0x2                   // scaleToBpe: accumulate d0 lower and *= bpe into Cin addr
v_cndmask_b32 v24, -1, v24, s[58:59]               // LDD clip if OOB. offset
/* (d1,vc1,d0,vc0)=(0,1,0,2) */
_v_add_co_u32 v4, vcc, v0, 2                       // coord0.1: coord0 += d0*sg0*VW + vc0
v_cmp_lt_u32 s[54:55], v4, s[sgprSizeI]            // coord0 < size0
v_cmp_lt_u32 s[58:59], v1, s[sgprSizeJ]            // coord1 < size1
s_and_b64 s[58:59], s[54:55], s[58:59]             // in0 && in1
_v_add_lshl_u32 v26, v3, v4, 0x2                   // scaleToBpe: accumulate d0 lower and *= bpe into Cin addr
v_cndmask_b32 v26, -1, v26, s[58:59]               // LDD clip if OOB. offset
/* (d1,vc1,d0,vc0)=(0,1,0,3) */
_v_add_co_u32 v4, vcc, v0, 3                       // coord0.1: coord0 += d0*sg0*VW + vc0
v_cmp_lt_u32 s[54:55], v4, s[sgprSizeI]            // coord0 < size0
v_cmp_lt_u32 s[58:59], v1, s[sgprSizeJ]            // coord1 < size1
s_and_b64 s[58:59], s[54:55], s[58:59]             // in0 && in1
_v_add_lshl_u32 v28, v3, v4, 0x2                   // scaleToBpe: accumulate d0 lower and *= bpe into Cin addr
v_cndmask_b32 v28, -1, v28, s[58:59]               // LDD clip if OOB. offset
/* (d1,vc1,d0,vc0)=(0,1,1,0) */
_v_add_co_u32 v4, vcc, v0, 16                      // coord0.1: coord0 += d0*sg0*VW + vc0
v_cmp_lt_u32 s[54:55], v4, s[sgprSizeI]            // coord0 < size0
v_cmp_lt_u32 s[58:59], v1, s[sgprSizeJ]            // coord1 < size1
s_and_b64 s[58:59], s[54:55], s[58:59]             // in0 && in1
_v_add_lshl_u32 v30, v3, v4, 0x2                   // scaleToBpe: accumulate d0 lower and *= bpe into Cin addr
v_cndmask_b32 v30, -1, v30, s[58:59]               // LDD clip if OOB. offset
/* (d1,vc1,d0,vc0)=(0,1,1,1) */
_v_add_co_u32 v4, vcc, v0, 17                      // coord0.1: coord0 += d0*sg0*VW + vc0
v_cmp_lt_u32 s[54:55], v4, s[sgprSizeI]            // coord0 < size0
v_cmp_lt_u32 s[58:59], v1, s[sgprSizeJ]            // coord1 < size1
s_and_b64 s[58:59], s[54:55], s[58:59]             // in0 && in1
_v_add_lshl_u32 v32, v3, v4, 0x2                   // scaleToBpe: accumulate d0 lower and *= bpe into Cin addr
v_cndmask_b32 v32, -1, v32, s[58:59]               // LDD clip if OOB. offset
/* (d1,vc1,d0,vc0)=(0,1,1,2) */
_v_add_co_u32 v4, vcc, v0, 18                      // coord0.1: coord0 += d0*sg0*VW + vc0
v_cmp_lt_u32 s[54:55], v4, s[sgprSizeI]            // coord0 < size0
v_cmp_lt_u32 s[58:59], v1, s[sgprSizeJ]            // coord1 < size1
s_and_b64 s[58:59], s[54:55], s[58:59]             // in0 && in1
_v_add_lshl_u32 v34, v3, v4, 0x2                   // scaleToBpe: accumulate d0 lower and *= bpe into Cin addr
v_cndmask_b32 v34, -1, v34, s[58:59]               // LDD clip if OOB. offset
/* (d1,vc1,d0,vc0)=(0,1,1,3) */
_v_add_co_u32 v4, vcc, v0, 19                      // coord0.1: coord0 += d0*sg0*VW + vc0
v_cmp_lt_u32 s[54:55], v4, s[sgprSizeI]            // coord0 < size0
v_cmp_lt_u32 s[58:59], v1, s[sgprSizeJ]            // coord1 < size1
s_and_b64 s[58:59], s[54:55], s[58:59]             // in0 && in1
_v_add_lshl_u32 v36, v3, v4, 0x2                   // scaleToBpe: accumulate d0 lower and *= bpe into Cin addr
v_cndmask_b32 v36, -1, v36, s[58:59]               // LDD clip if OOB. offset
/* (d1,vc1,d0,vc0)=(0,2,0,0) */
_v_add_co_u32 v1, vcc, v1, 1                       // coord1.1: coord1Vgpr += d1*sg1*VW + vc1

/* Fix for UseInitialStridesCD, emitAddressSetupCode */
_v_add_u32 v2, v2, s[sgprStrideC1J]                // ROWINC- Move cinRowPtr to next row
_v_add_u32 v3, v3, s[sgprStrideD1J]                // Move coutRowPtr to next row
v_cmp_lt_u32 s[54:55], v0, s[sgprSizeI]            // coord0 < size0
v_cmp_lt_u32 s[58:59], v1, s[sgprSizeJ]            // coord1 < size1
s_and_b64 s[58:59], s[54:55], s[58:59]             // in0 && in1
_v_add_lshl_u32 v38, v3, v0, 0x2                   // scaleToBpe: accumulate d0 lower and *= bpe into Cin addr
v_cndmask_b32 v38, -1, v38, s[58:59]               // LDD clip if OOB. offset
/* (d1,vc1,d0,vc0)=(0,2,0,1) */
_v_add_co_u32 v4, vcc, v0, 1                       // coord0.1: coord0 += d0*sg0*VW + vc0
v_cmp_lt_u32 s[54:55], v4, s[sgprSizeI]            // coord0 < size0
v_cmp_lt_u32 s[58:59], v1, s[sgprSizeJ]            // coord1 < size1
s_and_b64 s[58:59], s[54:55], s[58:59]             // in0 && in1
_v_add_lshl_u32 v40, v3, v4, 0x2                   // scaleToBpe: accumulate d0 lower and *= bpe into Cin addr
v_cndmask_b32 v40, -1, v40, s[58:59]               // LDD clip if OOB. offset
	;; [unrolled: 60-line block ×3, first 2 shown]
/* (d1,vc1,d0,vc0)=(0,3,0,2) */
_v_add_co_u32 v4, vcc, v0, 2                       // coord0.1: coord0 += d0*sg0*VW + vc0
v_cmp_lt_u32 s[54:55], v4, s[sgprSizeI]            // coord0 < size0
v_cmp_lt_u32 s[58:59], v1, s[sgprSizeJ]            // coord1 < size1
s_and_b64 s[58:59], s[54:55], s[58:59]             // in0 && in1
_v_add_lshl_u32 v60, v3, v4, 0x2                   // scaleToBpe: accumulate d0 lower and *= bpe into Cin addr
v_cndmask_b32 v60, -1, v60, s[58:59]               // LDD clip if OOB. offset
/* (d1,vc1,d0,vc0)=(0,3,0,3) */
_v_add_co_u32 v4, vcc, v0, 3                       // coord0.1: coord0 += d0*sg0*VW + vc0
v_cmp_lt_u32 s[54:55], v4, s[sgprSizeI]            // coord0 < size0
v_cmp_lt_u32 s[58:59], v1, s[sgprSizeJ]            // coord1 < size1
s_and_b64 s[58:59], s[54:55], s[58:59]             // in0 && in1
_v_add_lshl_u32 v62, v3, v4, 0x2                   // scaleToBpe: accumulate d0 lower and *= bpe into Cin addr
v_cndmask_b32 v62, -1, v62, s[58:59]               // LDD clip if OOB. offset
v_accvgpr_read_b32 v[vgprValuC+7], acc0 // copy acc to vreg[0]
v_accvgpr_read_b32 v[vgprValuC+9], acc1 // copy acc to vreg[1]
v_accvgpr_read_b32 v[vgprValuC+11], acc2 // copy acc to vreg[2]
v_accvgpr_read_b32 v[vgprValuC+13], acc3 // copy acc to vreg[3]
v_accvgpr_read_b32 v[vgprValuC+15], acc4 // copy acc to vreg[4]
v_accvgpr_read_b32 v[vgprValuC+17], acc5 // copy acc to vreg[5]
v_accvgpr_read_b32 v[vgprValuC+19], acc6 // copy acc to vreg[6]
v_accvgpr_read_b32 v[vgprValuC+21], acc7 // copy acc to vreg[7]
v_accvgpr_read_b32 v[vgprValuC+23], acc8 // copy acc to vreg[8]
v_accvgpr_read_b32 v[vgprValuC+25], acc9 // copy acc to vreg[9]
v_accvgpr_read_b32 v[vgprValuC+27], acc10 // copy acc to vreg[10]
v_accvgpr_read_b32 v[vgprValuC+29], acc11 // copy acc to vreg[11]
v_accvgpr_read_b32 v[vgprValuC+31], acc12 // copy acc to vreg[12]
v_accvgpr_read_b32 v[vgprValuC+33], acc13 // copy acc to vreg[13]
v_accvgpr_read_b32 v[vgprValuC+35], acc14 // copy acc to vreg[14]
v_accvgpr_read_b32 v[vgprValuC+37], acc15 // copy acc to vreg[15]
v_accvgpr_read_b32 v[vgprValuC+39], acc16 // copy acc to vreg[16]
v_accvgpr_read_b32 v[vgprValuC+41], acc17 // copy acc to vreg[17]
v_accvgpr_read_b32 v[vgprValuC+43], acc18 // copy acc to vreg[18]
v_accvgpr_read_b32 v[vgprValuC+45], acc19 // copy acc to vreg[19]
v_accvgpr_read_b32 v[vgprValuC+47], acc20 // copy acc to vreg[20]
v_accvgpr_read_b32 v[vgprValuC+51], acc21 // copy acc to vreg[21]
v_accvgpr_read_b32 v[vgprValuC+53], acc22 // copy acc to vreg[22]
v_accvgpr_read_b32 v[vgprValuC+55], acc23 // copy acc to vreg[23]
v_accvgpr_read_b32 v[vgprValuC+57], acc24 // copy acc to vreg[24]
v_accvgpr_read_b32 v[vgprValuC+59], acc25 // copy acc to vreg[25]
v_accvgpr_read_b32 v[vgprValuC+61], acc26 // copy acc to vreg[26]
v_accvgpr_read_b32 v[vgprValuC+63], acc27 // copy acc to vreg[27]
s_nop 1                                            // 2 wait states required before reading vgpr

/* rC *= alpha batchElements=[(0, 0, 0, 0), (0, 0, 0, 1), (0, 0, 0, 2), (0, 0, 0, 3), (0, 1, 0, 0), (0, 1, 0, 1), (0, 1, 0, 2), (0, 1, 0, 3), (0, 0, 1, 0), (0, 0, 1, 1), (0, 0, 1, 2), (0, 0, 1, 3), (0, 1, 1, 0), (0, 1, 1, 1), (0, 1, 1, 2), (0, 1, 1, 3), (0, 0, 2, 0), (0, 0, 2, 1), (0, 0, 2, 2), (0, 0, 2, 3), (0, 1, 2, 0), (0, 1, 2, 1), (0, 1, 2, 2), (0, 1, 2, 3), (0, 0, 3, 0), (0, 0, 3, 1), (0, 0, 3, 2), (0, 0, 3, 3)] */
v_mul_f32 v[vgprValuC+7], s[sgprAlpha], v[vgprValuC+7] // *= alpha
v_mul_f32 v[vgprValuC+9], s[sgprAlpha], v[vgprValuC+9] // *= alpha
	;; [unrolled: 1-line block ×28, first 2 shown]

/* apply mask, calc new C and issue writes */
_buffer_store_b32 v7, v6, s[sgprSrdD:sgprSrdD+3], 0, offen, offset:0 // store D
_buffer_store_b32 v9, v8, s[sgprSrdD:sgprSrdD+3], 0, offen, offset:0 // store D
	;; [unrolled: 1-line block ×28, first 2 shown]
s_nop 0                                            // 1 wait state required when next inst writes vgprs held by previous dwordx4 store inst
/* optSingleColVgpr=0 optSharedColVgpr=0 optSGPRUsage=BufferLoad_Edge_Mask optSrdIncForRow=0 */

/******************************************/
/* Global Write Alpha Edge Batch #1 (d1,d0,vc1,vc0) = */
/*    (0,1,3,0:vw1); (0,1,3,1:vw1); (0,1,3,2:vw1); (0,1,3,3:vw1) */
/******************************************/

/* calc coords, apply mask, and issue loads (if necessary) */
/* (d1,vc1,d0,vc0)=(0,3,1,0) */
_v_add_co_u32 v4, vcc, v0, 16                      // coord0.1: coord0 += d0*sg0*VW + vc0
v_cmp_lt_u32 s[54:55], v4, s[sgprSizeI]            // coord0 < size0
v_cmp_lt_u32 s[58:59], v1, s[sgprSizeJ]            // coord1 < size1
s_and_b64 s[58:59], s[54:55], s[58:59]             // in0 && in1
_v_add_lshl_u32 v6, v3, v4, 0x2                    // scaleToBpe: accumulate d0 lower and *= bpe into Cin addr
v_cndmask_b32 v6, -1, v6, s[58:59]                 // LDD clip if OOB. offset
/* (d1,vc1,d0,vc0)=(0,3,1,1) */
_v_add_co_u32 v4, vcc, v0, 17                      // coord0.1: coord0 += d0*sg0*VW + vc0
v_cmp_lt_u32 s[54:55], v4, s[sgprSizeI]            // coord0 < size0
v_cmp_lt_u32 s[58:59], v1, s[sgprSizeJ]            // coord1 < size1
s_and_b64 s[58:59], s[54:55], s[58:59]             // in0 && in1
_v_add_lshl_u32 v8, v3, v4, 0x2                    // scaleToBpe: accumulate d0 lower and *= bpe into Cin addr
v_cndmask_b32 v8, -1, v8, s[58:59]                 // LDD clip if OOB. offset
/* (d1,vc1,d0,vc0)=(0,3,1,2) */
_v_add_co_u32 v4, vcc, v0, 18                      // coord0.1: coord0 += d0*sg0*VW + vc0
v_cmp_lt_u32 s[54:55], v4, s[sgprSizeI]            // coord0 < size0
v_cmp_lt_u32 s[58:59], v1, s[sgprSizeJ]            // coord1 < size1
s_and_b64 s[58:59], s[54:55], s[58:59]             // in0 && in1
_v_add_lshl_u32 v10, v3, v4, 0x2                   // scaleToBpe: accumulate d0 lower and *= bpe into Cin addr
v_cndmask_b32 v10, -1, v10, s[58:59]               // LDD clip if OOB. offset
/* (d1,vc1,d0,vc0)=(0,3,1,3) */
_v_add_co_u32 v4, vcc, v0, 19                      // coord0.1: coord0 += d0*sg0*VW + vc0
v_cmp_lt_u32 s[54:55], v4, s[sgprSizeI]            // coord0 < size0
v_cmp_lt_u32 s[58:59], v1, s[sgprSizeJ]            // coord1 < size1
s_and_b64 s[58:59], s[54:55], s[58:59]             // in0 && in1
_v_add_lshl_u32 v12, v3, v4, 0x2                   // scaleToBpe: accumulate d0 lower and *= bpe into Cin addr
v_cndmask_b32 v12, -1, v12, s[58:59]               // LDD clip if OOB. offset
v_accvgpr_read_b32 v[vgprValuC+7], acc28 // copy acc to vreg[28]
v_accvgpr_read_b32 v[vgprValuC+9], acc29 // copy acc to vreg[29]
v_accvgpr_read_b32 v[vgprValuC+11], acc30 // copy acc to vreg[30]
v_accvgpr_read_b32 v[vgprValuC+13], acc31 // copy acc to vreg[31]
s_nop 1                                            // 2 wait states required before reading vgpr

/* rC *= alpha batchElements=[(0, 1, 3, 0), (0, 1, 3, 1), (0, 1, 3, 2), (0, 1, 3, 3)] */
v_mul_f32 v[vgprValuC+7], s[sgprAlpha], v[vgprValuC+7] // *= alpha
v_mul_f32 v[vgprValuC+9], s[sgprAlpha], v[vgprValuC+9] // *= alpha
	;; [unrolled: 1-line block ×4, first 2 shown]

/* apply mask, calc new C and issue writes */
_buffer_store_b32 v7, v6, s[sgprSrdD:sgprSrdD+3], 0, offen, offset:0 // store D
_buffer_store_b32 v9, v8, s[sgprSrdD:sgprSrdD+3], 0, offen, offset:0 // store D
	;; [unrolled: 1-line block ×4, first 2 shown]
s_nop 0                                            // 1 wait state required when next inst writes vgprs held by previous dwordx4 store inst
s_branch label_GW_End_76                           // jump to end
GW_Beta_77:
s_and_b32 s54, 31, s[sgprSizeI]                    // s54 = s[sgprSizeI] % 32
s_add_u32 s55, -0x1, s[sgprNumWorkGroups0]         // 
s_cmp_ge_u32 s[sgprWorkGroup0], s55                // wg0 >= nwg0-1 ?
s_cselect_b32 s54, s54, 0                          // set rMT0
s_cmpk_gt_u32 s54, 0x0                             // rMT0 > 0
s_cbranch_scc1 GW_B1_E1_75                         // jump if edges required
s_and_b32 s54, 255, s[sgprSizeJ]                   // s54 = s[sgprSizeJ] % 256
s_add_u32 s55, -0x1, s[sgprNumWorkGroups1]         // 
s_cmp_ge_u32 s[sgprWorkGroup1], s55                // wg1 >= nwg1-1
s_cselect_b32 s54, s54, 0                          // set rMT1
s_cmpk_gt_u32 s54, 0x0                             // rMT1 > 0
s_cbranch_scc1 GW_B1_E1_75                         // jump if edges required
GW_B1_E0_72:

/* edge=0, allocate 2 sgpr. perBatchTmpS=2 perBatchMaskS=0 perElementMaskS=0 elementsPerBatch=6 */
/* optSingleColVgpr=1 optSharedColVgpr=0 optSGPRUsage=BufferLoad_Mask optSrdIncForRow=1 */

/******************************************/
/* Global Write Alpha Beta Batch #0 (d1,d0,vc1,vc0) = */
/*    (0,0,0,0:vw4); (0,1,0,0:vw4); (0,0,1,0:vw4); (0,1,1,0:vw4); (0,0,2,0:vw4); (0,1,2,0:vw4) */
/******************************************/

/* calc coords, apply mask, and issue loads (if necessary) */
/* (d1,vc1,d0,vc0)=(0,0,0,0) */
_v_add_lshl_u32 v7, v2, v0, 0x2                    // optSingleColVgpr scaleToBpe: sharedAddrVgpr <- cinRowPtr + coord0, scaled by BPE. BSHERE:coord0=0, coord0Vgpr=0
_buffer_load_b128 v[8:11], v7, s[sgprSrdC:sgprSrdC+3], 0, offen offset:0 // load C for beta calc
/* (d1,vc1,d0,vc0)=(0,0,1,0) */
_buffer_load_b128 v[16:19], v7, s[sgprSrdC:sgprSrdC+3], 0, offen offset:64 // load C for beta calc
/* (d1,vc1,d0,vc0)=(0,1,0,0) */
s_lshl_b32  s54, s[sgprStrideC1J], 2               // incToNextRow: Scale by BPE
s_add_u32  s[sgprSrdC+0], s[sgprSrdC+0], s54       // incToNextRow: gra SRD += inc(lower)
s_addc_u32  s[sgprSrdC+1], s[sgprSrdC+1], 0        // incToNextRow: gra SRD += inc(upper)
_buffer_load_b128 v[24:27], v7, s[sgprSrdC:sgprSrdC+3], 0, offen offset:0 // load C for beta calc
/* (d1,vc1,d0,vc0)=(0,1,1,0) */
_buffer_load_b128 v[32:35], v7, s[sgprSrdC:sgprSrdC+3], 0, offen offset:64 // load C for beta calc
/* (d1,vc1,d0,vc0)=(0,2,0,0) */
s_lshl_b32  s54, s[sgprStrideC1J], 2               // incToNextRow: Scale by BPE
s_add_u32  s[sgprSrdC+0], s[sgprSrdC+0], s54       // incToNextRow: gra SRD += inc(lower)
s_addc_u32  s[sgprSrdC+1], s[sgprSrdC+1], 0        // incToNextRow: gra SRD += inc(upper)
_buffer_load_b128 v[40:43], v7, s[sgprSrdC:sgprSrdC+3], 0, offen offset:0 // load C for beta calc
/* (d1,vc1,d0,vc0)=(0,2,1,0) */
_buffer_load_b128 v[52:55], v7, s[sgprSrdC:sgprSrdC+3], 0, offen offset:64 // load C for beta calc
_v_add_lshl_u32 v6, v3, v0, 0x2                    // optSingleColVgpr scaleToBpe: sharedAddrVgpr <- cinRowPtr + coord0, scaled by BPE. BSHERE:coord0=0, coord0Vgpr=0
v_accvgpr_read_b32 v[vgprValuC+12], acc0 // copy acc to vreg[0]
v_accvgpr_read_b32 v[vgprValuC+13], acc1 // copy acc to vreg[1]
v_accvgpr_read_b32 v[vgprValuC+14], acc2 // copy acc to vreg[2]
v_accvgpr_read_b32 v[vgprValuC+15], acc3 // copy acc to vreg[3]
v_accvgpr_read_b32 v[vgprValuC+20], acc4 // copy acc to vreg[4]
v_accvgpr_read_b32 v[vgprValuC+21], acc5 // copy acc to vreg[5]
v_accvgpr_read_b32 v[vgprValuC+22], acc6 // copy acc to vreg[6]
v_accvgpr_read_b32 v[vgprValuC+23], acc7 // copy acc to vreg[7]
v_accvgpr_read_b32 v[vgprValuC+28], acc8 // copy acc to vreg[8]
v_accvgpr_read_b32 v[vgprValuC+29], acc9 // copy acc to vreg[9]
v_accvgpr_read_b32 v[vgprValuC+30], acc10 // copy acc to vreg[10]
v_accvgpr_read_b32 v[vgprValuC+31], acc11 // copy acc to vreg[11]
v_accvgpr_read_b32 v[vgprValuC+36], acc12 // copy acc to vreg[12]
v_accvgpr_read_b32 v[vgprValuC+37], acc13 // copy acc to vreg[13]
v_accvgpr_read_b32 v[vgprValuC+38], acc14 // copy acc to vreg[14]
v_accvgpr_read_b32 v[vgprValuC+39], acc15 // copy acc to vreg[15]
v_accvgpr_read_b32 v[vgprValuC+44], acc16 // copy acc to vreg[16]
v_accvgpr_read_b32 v[vgprValuC+45], acc17 // copy acc to vreg[17]
v_accvgpr_read_b32 v[vgprValuC+46], acc18 // copy acc to vreg[18]
v_accvgpr_read_b32 v[vgprValuC+47], acc19 // copy acc to vreg[19]
v_accvgpr_read_b32 v[vgprValuC+56], acc20 // copy acc to vreg[20]
v_accvgpr_read_b32 v[vgprValuC+57], acc21 // copy acc to vreg[21]
v_accvgpr_read_b32 v[vgprValuC+58], acc22 // copy acc to vreg[22]
v_accvgpr_read_b32 v[vgprValuC+59], acc23 // copy acc to vreg[23]
s_nop 1                                            // 2 wait states required before reading vgpr

/* rC *= alpha batchElements=[(0, 0, 0, 0), (0, 1, 0, 0), (0, 0, 1, 0), (0, 1, 1, 0), (0, 0, 2, 0), (0, 1, 2, 0)] */
v_mul_f32 v[vgprValuC+12], s[sgprAlpha], v[vgprValuC+12] // *= alpha
v_mul_f32 v[vgprValuC+13], s[sgprAlpha], v[vgprValuC+13] // *= alpha
	;; [unrolled: 1-line block ×24, first 2 shown]

/* apply mask, calc new C and issue writes */

s_waitcnt vmcnt(5)                                 // wait C (interleaved) 5 = 6 - 0 + 0 - 1
_v_mac_f32 v[vgprValuC+12], v8, s[sgprBeta]        // finalSum = sum*alpha + C*beta
_v_mac_f32 v[vgprValuC+13], v9, s[sgprBeta]        // finalSum = sum*alpha + C*beta
_v_mac_f32 v[vgprValuC+14], v10, s[sgprBeta]       // finalSum = sum*alpha + C*beta
_v_mac_f32 v[vgprValuC+15], v11, s[sgprBeta]       // finalSum = sum*alpha + C*beta
_buffer_store_b128 v[12:15], v6, s[sgprSrdD:sgprSrdD+3], 0, offen, offset:0 // store D

s_waitcnt vmcnt(5)                                 // wait C (interleaved) 5 = 6 - 1 + 1 - 1
_v_mac_f32 v[vgprValuC+20], v16, s[sgprBeta]       // finalSum = sum*alpha + C*beta
_v_mac_f32 v[vgprValuC+21], v17, s[sgprBeta]       // finalSum = sum*alpha + C*beta
	;; [unrolled: 1-line block ×4, first 2 shown]
_buffer_store_b128 v[20:23], v6, s[sgprSrdD:sgprSrdD+3], 0, offen, offset:64 // store D

s_waitcnt vmcnt(5)                                 // wait C (interleaved) 5 = 6 - 2 + 2 - 1
_v_mac_f32 v[vgprValuC+28], v24, s[sgprBeta]       // finalSum = sum*alpha + C*beta
_v_mac_f32 v[vgprValuC+29], v25, s[sgprBeta]       // finalSum = sum*alpha + C*beta
	;; [unrolled: 1-line block ×4, first 2 shown]
s_lshl_b32  s54, s[sgprStrideD1J], 2               // incToNextRow: Scale by BPE
s_add_u32  s[sgprSrdD+0], s[sgprSrdD+0], s54       // incToNextRow: gra SRD += inc(lower)
s_addc_u32  s[sgprSrdD+1], s[sgprSrdD+1], 0        // incToNextRow: gra SRD += inc(upper)
_buffer_store_b128 v[28:31], v6, s[sgprSrdD:sgprSrdD+3], 0, offen, offset:0 // store D

s_waitcnt vmcnt(5)                                 // wait C (interleaved) 5 = 6 - 3 + 3 - 1
_v_mac_f32 v[vgprValuC+36], v32, s[sgprBeta]       // finalSum = sum*alpha + C*beta
_v_mac_f32 v[vgprValuC+37], v33, s[sgprBeta]       // finalSum = sum*alpha + C*beta
	;; [unrolled: 1-line block ×4, first 2 shown]
_buffer_store_b128 v[36:39], v6, s[sgprSrdD:sgprSrdD+3], 0, offen, offset:64 // store D

s_waitcnt vmcnt(5)                                 // wait C (interleaved) 5 = 6 - 4 + 4 - 1
_v_mac_f32 v[vgprValuC+44], v40, s[sgprBeta]       // finalSum = sum*alpha + C*beta
_v_mac_f32 v[vgprValuC+45], v41, s[sgprBeta]       // finalSum = sum*alpha + C*beta
	;; [unrolled: 1-line block ×4, first 2 shown]
s_lshl_b32  s54, s[sgprStrideD1J], 2               // incToNextRow: Scale by BPE
s_add_u32  s[sgprSrdD+0], s[sgprSrdD+0], s54       // incToNextRow: gra SRD += inc(lower)
s_addc_u32  s[sgprSrdD+1], s[sgprSrdD+1], 0        // incToNextRow: gra SRD += inc(upper)
_buffer_store_b128 v[44:47], v6, s[sgprSrdD:sgprSrdD+3], 0, offen, offset:0 // store D

s_waitcnt vmcnt(5)                                 // wait C (interleaved) 5 = 6 - 5 + 5 - 1
_v_mac_f32 v[vgprValuC+56], v52, s[sgprBeta]       // finalSum = sum*alpha + C*beta
_v_mac_f32 v[vgprValuC+57], v53, s[sgprBeta]       // finalSum = sum*alpha + C*beta
_v_mac_f32 v[vgprValuC+58], v54, s[sgprBeta]       // finalSum = sum*alpha + C*beta
_v_mac_f32 v[vgprValuC+59], v55, s[sgprBeta]       // finalSum = sum*alpha + C*beta
_buffer_store_b128 v[56:59], v6, s[sgprSrdD:sgprSrdD+3], 0, offen, offset:64 // store D
s_nop 0                                            // 1 wait state required when next inst writes vgprs held by previous dwordx4 store inst
/* optSingleColVgpr=1 optSharedColVgpr=0 optSGPRUsage=BufferLoad_Mask optSrdIncForRow=1 */

/******************************************/
/* Global Write Alpha Beta Batch #1 (d1,d0,vc1,vc0) = */
/*    (0,0,3,0:vw4); (0,1,3,0:vw4)        */
/******************************************/

/* calc coords, apply mask, and issue loads (if necessary) */
/* (d1,vc1,d0,vc0)=(0,3,0,0) */
s_lshl_b32  s54, s[sgprStrideC1J], 2               // incToNextRow: Scale by BPE
s_add_u32  s[sgprSrdC+0], s[sgprSrdC+0], s54       // incToNextRow: gra SRD += inc(lower)
s_addc_u32  s[sgprSrdC+1], s[sgprSrdC+1], 0        // incToNextRow: gra SRD += inc(upper)
_buffer_load_b128 v[8:11], v7, s[sgprSrdC:sgprSrdC+3], 0, offen offset:0 // load C for beta calc
/* (d1,vc1,d0,vc0)=(0,3,1,0) */
_buffer_load_b128 v[16:19], v7, s[sgprSrdC:sgprSrdC+3], 0, offen offset:64 // load C for beta calc
v_accvgpr_read_b32 v[vgprValuC+12], acc24 // copy acc to vreg[24]
v_accvgpr_read_b32 v[vgprValuC+13], acc25 // copy acc to vreg[25]
v_accvgpr_read_b32 v[vgprValuC+14], acc26 // copy acc to vreg[26]
v_accvgpr_read_b32 v[vgprValuC+15], acc27 // copy acc to vreg[27]
v_accvgpr_read_b32 v[vgprValuC+20], acc28 // copy acc to vreg[28]
v_accvgpr_read_b32 v[vgprValuC+21], acc29 // copy acc to vreg[29]
v_accvgpr_read_b32 v[vgprValuC+22], acc30 // copy acc to vreg[30]
v_accvgpr_read_b32 v[vgprValuC+23], acc31 // copy acc to vreg[31]
s_nop 1                                            // 2 wait states required before reading vgpr

/* rC *= alpha batchElements=[(0, 0, 3, 0), (0, 1, 3, 0)] */
v_mul_f32 v[vgprValuC+12], s[sgprAlpha], v[vgprValuC+12] // *= alpha
v_mul_f32 v[vgprValuC+13], s[sgprAlpha], v[vgprValuC+13] // *= alpha
	;; [unrolled: 1-line block ×8, first 2 shown]

/* apply mask, calc new C and issue writes */

s_waitcnt vmcnt(1)                                 // wait C (interleaved) 1 = 2 - 0 + 0 - 1
_v_mac_f32 v[vgprValuC+12], v8, s[sgprBeta]        // finalSum = sum*alpha + C*beta
_v_mac_f32 v[vgprValuC+13], v9, s[sgprBeta]        // finalSum = sum*alpha + C*beta
_v_mac_f32 v[vgprValuC+14], v10, s[sgprBeta]       // finalSum = sum*alpha + C*beta
_v_mac_f32 v[vgprValuC+15], v11, s[sgprBeta]       // finalSum = sum*alpha + C*beta
s_lshl_b32  s54, s[sgprStrideD1J], 2               // incToNextRow: Scale by BPE
s_add_u32  s[sgprSrdD+0], s[sgprSrdD+0], s54       // incToNextRow: gra SRD += inc(lower)
s_addc_u32  s[sgprSrdD+1], s[sgprSrdD+1], 0        // incToNextRow: gra SRD += inc(upper)
_buffer_store_b128 v[12:15], v6, s[sgprSrdD:sgprSrdD+3], 0, offen, offset:0 // store D

s_waitcnt vmcnt(1)                                 // wait C (interleaved) 1 = 2 - 1 + 1 - 1
_v_mac_f32 v[vgprValuC+20], v16, s[sgprBeta]       // finalSum = sum*alpha + C*beta
_v_mac_f32 v[vgprValuC+21], v17, s[sgprBeta]       // finalSum = sum*alpha + C*beta
	;; [unrolled: 1-line block ×4, first 2 shown]
_buffer_store_b128 v[20:23], v6, s[sgprSrdD:sgprSrdD+3], 0, offen, offset:64 // store D
s_nop 0                                            // 1 wait state required when next inst writes vgprs held by previous dwordx4 store inst
s_branch label_GW_End_76                           // jump to end
GW_B1_E1_75:

/* edge=1, allocate 6 sgpr. perBatchTmpS=4 perBatchMaskS=2 perElementMaskS=0 elementsPerBatch=18 */
/* optSingleColVgpr=0 optSharedColVgpr=0 optSGPRUsage=BufferLoad_Edge_Mask optSrdIncForRow=0 */

/******************************************/
/* Global Write Alpha Beta Edge Batch #0 (d1,d0,vc1,vc0) = */
/*    (0,0,0,0:vw1); (0,0,0,1:vw1); (0,0,0,2:vw1); (0,0,0,3:vw1); (0,1,0,0:vw1); (0,1,0,1:vw1); (0,1,0,2:vw1); (0,1,0,3:vw1); (0,0,1,0:vw1); (0,0,1,1:vw1); (0,0,1,2:vw1); (0,0,1,3:vw1); (0,1,1,0:vw1); (0,1,1,1:vw1); (0,1,1,2:vw1); (0,1,1,3:vw1); (0,0,2,0:vw1); (0,0,2,1:vw1) */
/******************************************/

/* calc coords, apply mask, and issue loads (if necessary) */
/* (d1,vc1,d0,vc0)=(0,0,0,0) */
v_cmp_lt_u32 s[54:55], v0, s[sgprSizeI]            // coord0 < size0
v_cmp_lt_u32 s[58:59], v1, s[sgprSizeJ]            // coord1 < size1
s_and_b64 s[58:59], s[54:55], s[58:59]             // in0 && in1
_v_add_lshl_u32 v6, v2, v0, 0x2                    // scaleToBpe: accumulate d0 lower and *= bpe into Cin addr
v_cndmask_b32 v6, -1, v6, s[58:59]                 // LDC clip if OOB. offset
_buffer_load_b32 v7, v6, s[sgprSrdC:sgprSrdC+3], 0, offen offset:0 // load C for beta calc
_v_add_lshl_u32 v6, v3, v0, 0x2                    // scaleToBpe: accumulate d0 lower and *= bpe into Cin addr
v_cndmask_b32 v6, -1, v6, s[58:59]                 // LDD clip if OOB. offset
/* (d1,vc1,d0,vc0)=(0,0,0,1) */
_v_add_co_u32 v4, vcc, v0, 1                       // coord0.1: coord0 += d0*sg0*VW + vc0
v_cmp_lt_u32 s[54:55], v4, s[sgprSizeI]            // coord0 < size0
v_cmp_lt_u32 s[58:59], v1, s[sgprSizeJ]            // coord1 < size1
s_and_b64 s[58:59], s[54:55], s[58:59]             // in0 && in1
_v_add_lshl_u32 v9, v2, v4, 0x2                    // scaleToBpe: accumulate d0 lower and *= bpe into Cin addr
v_cndmask_b32 v9, -1, v9, s[58:59]                 // LDC clip if OOB. offset
_buffer_load_b32 v10, v9, s[sgprSrdC:sgprSrdC+3], 0, offen offset:0 // load C for beta calc
_v_add_lshl_u32 v9, v3, v4, 0x2                    // scaleToBpe: accumulate d0 lower and *= bpe into Cin addr
v_cndmask_b32 v9, -1, v9, s[58:59]                 // LDD clip if OOB. offset
/* (d1,vc1,d0,vc0)=(0,0,0,2) */
_v_add_co_u32 v4, vcc, v0, 2                       // coord0.1: coord0 += d0*sg0*VW + vc0
v_cmp_lt_u32 s[54:55], v4, s[sgprSizeI]            // coord0 < size0
v_cmp_lt_u32 s[58:59], v1, s[sgprSizeJ]            // coord1 < size1
s_and_b64 s[58:59], s[54:55], s[58:59]             // in0 && in1
_v_add_lshl_u32 v12, v2, v4, 0x2                   // scaleToBpe: accumulate d0 lower and *= bpe into Cin addr
v_cndmask_b32 v12, -1, v12, s[58:59]               // LDC clip if OOB. offset
_buffer_load_b32 v13, v12, s[sgprSrdC:sgprSrdC+3], 0, offen offset:0 // load C for beta calc
_v_add_lshl_u32 v12, v3, v4, 0x2                   // scaleToBpe: accumulate d0 lower and *= bpe into Cin addr
v_cndmask_b32 v12, -1, v12, s[58:59]               // LDD clip if OOB. offset
/* (d1,vc1,d0,vc0)=(0,0,0,3) */
_v_add_co_u32 v4, vcc, v0, 3                       // coord0.1: coord0 += d0*sg0*VW + vc0
v_cmp_lt_u32 s[54:55], v4, s[sgprSizeI]            // coord0 < size0
v_cmp_lt_u32 s[58:59], v1, s[sgprSizeJ]            // coord1 < size1
s_and_b64 s[58:59], s[54:55], s[58:59]             // in0 && in1
_v_add_lshl_u32 v15, v2, v4, 0x2                   // scaleToBpe: accumulate d0 lower and *= bpe into Cin addr
v_cndmask_b32 v15, -1, v15, s[58:59]               // LDC clip if OOB. offset
_buffer_load_b32 v16, v15, s[sgprSrdC:sgprSrdC+3], 0, offen offset:0 // load C for beta calc
_v_add_lshl_u32 v15, v3, v4, 0x2                   // scaleToBpe: accumulate d0 lower and *= bpe into Cin addr
v_cndmask_b32 v15, -1, v15, s[58:59]               // LDD clip if OOB. offset
/* (d1,vc1,d0,vc0)=(0,0,1,0) */
_v_add_co_u32 v4, vcc, v0, 16                      // coord0.1: coord0 += d0*sg0*VW + vc0
v_cmp_lt_u32 s[54:55], v4, s[sgprSizeI]            // coord0 < size0
v_cmp_lt_u32 s[58:59], v1, s[sgprSizeJ]            // coord1 < size1
s_and_b64 s[58:59], s[54:55], s[58:59]             // in0 && in1
_v_add_lshl_u32 v18, v2, v4, 0x2                   // scaleToBpe: accumulate d0 lower and *= bpe into Cin addr
v_cndmask_b32 v18, -1, v18, s[58:59]               // LDC clip if OOB. offset
_buffer_load_b32 v19, v18, s[sgprSrdC:sgprSrdC+3], 0, offen offset:0 // load C for beta calc
_v_add_lshl_u32 v18, v3, v4, 0x2                   // scaleToBpe: accumulate d0 lower and *= bpe into Cin addr
v_cndmask_b32 v18, -1, v18, s[58:59]               // LDD clip if OOB. offset
/* (d1,vc1,d0,vc0)=(0,0,1,1) */
_v_add_co_u32 v4, vcc, v0, 17                      // coord0.1: coord0 += d0*sg0*VW + vc0
	;; [unrolled: 10-line block ×4, first 2 shown]
v_cmp_lt_u32 s[54:55], v4, s[sgprSizeI]            // coord0 < size0
v_cmp_lt_u32 s[58:59], v1, s[sgprSizeJ]            // coord1 < size1
s_and_b64 s[58:59], s[54:55], s[58:59]             // in0 && in1
_v_add_lshl_u32 v27, v2, v4, 0x2                   // scaleToBpe: accumulate d0 lower and *= bpe into Cin addr
v_cndmask_b32 v27, -1, v27, s[58:59]               // LDC clip if OOB. offset
_buffer_load_b32 v28, v27, s[sgprSrdC:sgprSrdC+3], 0, offen offset:0 // load C for beta calc
_v_add_lshl_u32 v27, v3, v4, 0x2                   // scaleToBpe: accumulate d0 lower and *= bpe into Cin addr
v_cndmask_b32 v27, -1, v27, s[58:59]               // LDD clip if OOB. offset
/* (d1,vc1,d0,vc0)=(0,1,0,0) */
_v_add_co_u32 v1, vcc, v1, 1                       // coord1.1: coord1Vgpr += d1*sg1*VW + vc1

/* Fix for UseInitialStridesCD, emitAddressSetupCode */
_v_add_u32 v2, v2, s[sgprStrideC1J]                // ROWINC- Move cinRowPtr to next row
_v_add_u32 v3, v3, s[sgprStrideD1J]                // Move coutRowPtr to next row
v_cmp_lt_u32 s[54:55], v0, s[sgprSizeI]            // coord0 < size0
v_cmp_lt_u32 s[58:59], v1, s[sgprSizeJ]            // coord1 < size1
s_and_b64 s[58:59], s[54:55], s[58:59]             // in0 && in1
_v_add_lshl_u32 v30, v2, v0, 0x2                   // scaleToBpe: accumulate d0 lower and *= bpe into Cin addr
v_cndmask_b32 v30, -1, v30, s[58:59]               // LDC clip if OOB. offset
_buffer_load_b32 v31, v30, s[sgprSrdC:sgprSrdC+3], 0, offen offset:0 // load C for beta calc
_v_add_lshl_u32 v30, v3, v0, 0x2                   // scaleToBpe: accumulate d0 lower and *= bpe into Cin addr
v_cndmask_b32 v30, -1, v30, s[58:59]               // LDD clip if OOB. offset
/* (d1,vc1,d0,vc0)=(0,1,0,1) */
_v_add_co_u32 v4, vcc, v0, 1                       // coord0.1: coord0 += d0*sg0*VW + vc0
v_cmp_lt_u32 s[54:55], v4, s[sgprSizeI]            // coord0 < size0
v_cmp_lt_u32 s[58:59], v1, s[sgprSizeJ]            // coord1 < size1
s_and_b64 s[58:59], s[54:55], s[58:59]             // in0 && in1
_v_add_lshl_u32 v33, v2, v4, 0x2                   // scaleToBpe: accumulate d0 lower and *= bpe into Cin addr
v_cndmask_b32 v33, -1, v33, s[58:59]               // LDC clip if OOB. offset
_buffer_load_b32 v34, v33, s[sgprSrdC:sgprSrdC+3], 0, offen offset:0 // load C for beta calc
_v_add_lshl_u32 v33, v3, v4, 0x2                   // scaleToBpe: accumulate d0 lower and *= bpe into Cin addr
v_cndmask_b32 v33, -1, v33, s[58:59]               // LDD clip if OOB. offset
/* (d1,vc1,d0,vc0)=(0,1,0,2) */
_v_add_co_u32 v4, vcc, v0, 2                       // coord0.1: coord0 += d0*sg0*VW + vc0
v_cmp_lt_u32 s[54:55], v4, s[sgprSizeI]            // coord0 < size0
v_cmp_lt_u32 s[58:59], v1, s[sgprSizeJ]            // coord1 < size1
s_and_b64 s[58:59], s[54:55], s[58:59]             // in0 && in1
_v_add_lshl_u32 v36, v2, v4, 0x2                   // scaleToBpe: accumulate d0 lower and *= bpe into Cin addr
v_cndmask_b32 v36, -1, v36, s[58:59]               // LDC clip if OOB. offset
_buffer_load_b32 v37, v36, s[sgprSrdC:sgprSrdC+3], 0, offen offset:0 // load C for beta calc
_v_add_lshl_u32 v36, v3, v4, 0x2                   // scaleToBpe: accumulate d0 lower and *= bpe into Cin addr
v_cndmask_b32 v36, -1, v36, s[58:59]               // LDD clip if OOB. offset
/* (d1,vc1,d0,vc0)=(0,1,0,3) */
_v_add_co_u32 v4, vcc, v0, 3                       // coord0.1: coord0 += d0*sg0*VW + vc0
v_cmp_lt_u32 s[54:55], v4, s[sgprSizeI]            // coord0 < size0
v_cmp_lt_u32 s[58:59], v1, s[sgprSizeJ]            // coord1 < size1
s_and_b64 s[58:59], s[54:55], s[58:59]             // in0 && in1
_v_add_lshl_u32 v39, v2, v4, 0x2                   // scaleToBpe: accumulate d0 lower and *= bpe into Cin addr
v_cndmask_b32 v39, -1, v39, s[58:59]               // LDC clip if OOB. offset
_buffer_load_b32 v40, v39, s[sgprSrdC:sgprSrdC+3], 0, offen offset:0 // load C for beta calc
_v_add_lshl_u32 v39, v3, v4, 0x2                   // scaleToBpe: accumulate d0 lower and *= bpe into Cin addr
v_cndmask_b32 v39, -1, v39, s[58:59]               // LDD clip if OOB. offset
/* (d1,vc1,d0,vc0)=(0,1,1,0) */
_v_add_co_u32 v4, vcc, v0, 16                      // coord0.1: coord0 += d0*sg0*VW + vc0
v_cmp_lt_u32 s[54:55], v4, s[sgprSizeI]            // coord0 < size0
v_cmp_lt_u32 s[58:59], v1, s[sgprSizeJ]            // coord1 < size1
s_and_b64 s[58:59], s[54:55], s[58:59]             // in0 && in1
_v_add_lshl_u32 v42, v2, v4, 0x2                   // scaleToBpe: accumulate d0 lower and *= bpe into Cin addr
v_cndmask_b32 v42, -1, v42, s[58:59]               // LDC clip if OOB. offset
_buffer_load_b32 v43, v42, s[sgprSrdC:sgprSrdC+3], 0, offen offset:0 // load C for beta calc
_v_add_lshl_u32 v42, v3, v4, 0x2                   // scaleToBpe: accumulate d0 lower and *= bpe into Cin addr
v_cndmask_b32 v42, -1, v42, s[58:59]               // LDD clip if OOB. offset
/* (d1,vc1,d0,vc0)=(0,1,1,1) */
_v_add_co_u32 v4, vcc, v0, 17                      // coord0.1: coord0 += d0*sg0*VW + vc0
v_cmp_lt_u32 s[54:55], v4, s[sgprSizeI]            // coord0 < size0
v_cmp_lt_u32 s[58:59], v1, s[sgprSizeJ]            // coord1 < size1
s_and_b64 s[58:59], s[54:55], s[58:59]             // in0 && in1
_v_add_lshl_u32 v45, v2, v4, 0x2                   // scaleToBpe: accumulate d0 lower and *= bpe into Cin addr
v_cndmask_b32 v45, -1, v45, s[58:59]               // LDC clip if OOB. offset
_buffer_load_b32 v46, v45, s[sgprSrdC:sgprSrdC+3], 0, offen offset:0 // load C for beta calc
_v_add_lshl_u32 v45, v3, v4, 0x2                   // scaleToBpe: accumulate d0 lower and *= bpe into Cin addr
v_cndmask_b32 v45, -1, v45, s[58:59]               // LDD clip if OOB. offset
/* (d1,vc1,d0,vc0)=(0,1,1,2) */
_v_add_co_u32 v4, vcc, v0, 18                      // coord0.1: coord0 += d0*sg0*VW + vc0
v_cmp_lt_u32 s[54:55], v4, s[sgprSizeI]            // coord0 < size0
v_cmp_lt_u32 s[58:59], v1, s[sgprSizeJ]            // coord1 < size1
s_and_b64 s[58:59], s[54:55], s[58:59]             // in0 && in1
_v_add_lshl_u32 v50, v2, v4, 0x2                   // scaleToBpe: accumulate d0 lower and *= bpe into Cin addr
v_cndmask_b32 v50, -1, v50, s[58:59]               // LDC clip if OOB. offset
_buffer_load_b32 v51, v50, s[sgprSrdC:sgprSrdC+3], 0, offen offset:0 // load C for beta calc
_v_add_lshl_u32 v50, v3, v4, 0x2                   // scaleToBpe: accumulate d0 lower and *= bpe into Cin addr
v_cndmask_b32 v50, -1, v50, s[58:59]               // LDD clip if OOB. offset
/* (d1,vc1,d0,vc0)=(0,1,1,3) */
_v_add_co_u32 v4, vcc, v0, 19                      // coord0.1: coord0 += d0*sg0*VW + vc0
v_cmp_lt_u32 s[54:55], v4, s[sgprSizeI]            // coord0 < size0
v_cmp_lt_u32 s[58:59], v1, s[sgprSizeJ]            // coord1 < size1
s_and_b64 s[58:59], s[54:55], s[58:59]             // in0 && in1
_v_add_lshl_u32 v53, v2, v4, 0x2                   // scaleToBpe: accumulate d0 lower and *= bpe into Cin addr
v_cndmask_b32 v53, -1, v53, s[58:59]               // LDC clip if OOB. offset
_buffer_load_b32 v54, v53, s[sgprSrdC:sgprSrdC+3], 0, offen offset:0 // load C for beta calc
_v_add_lshl_u32 v53, v3, v4, 0x2                   // scaleToBpe: accumulate d0 lower and *= bpe into Cin addr
v_cndmask_b32 v53, -1, v53, s[58:59]               // LDD clip if OOB. offset
/* (d1,vc1,d0,vc0)=(0,2,0,0) */
_v_add_co_u32 v1, vcc, v1, 1                       // coord1.1: coord1Vgpr += d1*sg1*VW + vc1

/* Fix for UseInitialStridesCD, emitAddressSetupCode */
_v_add_u32 v2, v2, s[sgprStrideC1J]                // ROWINC- Move cinRowPtr to next row
_v_add_u32 v3, v3, s[sgprStrideD1J]                // Move coutRowPtr to next row
v_cmp_lt_u32 s[54:55], v0, s[sgprSizeI]            // coord0 < size0
v_cmp_lt_u32 s[58:59], v1, s[sgprSizeJ]            // coord1 < size1
s_and_b64 s[58:59], s[54:55], s[58:59]             // in0 && in1
_v_add_lshl_u32 v56, v2, v0, 0x2                   // scaleToBpe: accumulate d0 lower and *= bpe into Cin addr
v_cndmask_b32 v56, -1, v56, s[58:59]               // LDC clip if OOB. offset
_buffer_load_b32 v57, v56, s[sgprSrdC:sgprSrdC+3], 0, offen offset:0 // load C for beta calc
_v_add_lshl_u32 v56, v3, v0, 0x2                   // scaleToBpe: accumulate d0 lower and *= bpe into Cin addr
v_cndmask_b32 v56, -1, v56, s[58:59]               // LDD clip if OOB. offset
/* (d1,vc1,d0,vc0)=(0,2,0,1) */
_v_add_co_u32 v4, vcc, v0, 1                       // coord0.1: coord0 += d0*sg0*VW + vc0
v_cmp_lt_u32 s[54:55], v4, s[sgprSizeI]            // coord0 < size0
v_cmp_lt_u32 s[58:59], v1, s[sgprSizeJ]            // coord1 < size1
s_and_b64 s[58:59], s[54:55], s[58:59]             // in0 && in1
_v_add_lshl_u32 v59, v2, v4, 0x2                   // scaleToBpe: accumulate d0 lower and *= bpe into Cin addr
v_cndmask_b32 v59, -1, v59, s[58:59]               // LDC clip if OOB. offset
_buffer_load_b32 v60, v59, s[sgprSrdC:sgprSrdC+3], 0, offen offset:0 // load C for beta calc
_v_add_lshl_u32 v59, v3, v4, 0x2                   // scaleToBpe: accumulate d0 lower and *= bpe into Cin addr
v_cndmask_b32 v59, -1, v59, s[58:59]               // LDD clip if OOB. offset
v_accvgpr_read_b32 v[vgprValuC+8], acc0 // copy acc to vreg[0]
v_accvgpr_read_b32 v[vgprValuC+11], acc1 // copy acc to vreg[1]
v_accvgpr_read_b32 v[vgprValuC+14], acc2 // copy acc to vreg[2]
v_accvgpr_read_b32 v[vgprValuC+17], acc3 // copy acc to vreg[3]
v_accvgpr_read_b32 v[vgprValuC+20], acc4 // copy acc to vreg[4]
v_accvgpr_read_b32 v[vgprValuC+23], acc5 // copy acc to vreg[5]
v_accvgpr_read_b32 v[vgprValuC+26], acc6 // copy acc to vreg[6]
v_accvgpr_read_b32 v[vgprValuC+29], acc7 // copy acc to vreg[7]
v_accvgpr_read_b32 v[vgprValuC+32], acc8 // copy acc to vreg[8]
v_accvgpr_read_b32 v[vgprValuC+35], acc9 // copy acc to vreg[9]
v_accvgpr_read_b32 v[vgprValuC+38], acc10 // copy acc to vreg[10]
v_accvgpr_read_b32 v[vgprValuC+41], acc11 // copy acc to vreg[11]
v_accvgpr_read_b32 v[vgprValuC+44], acc12 // copy acc to vreg[12]
v_accvgpr_read_b32 v[vgprValuC+47], acc13 // copy acc to vreg[13]
v_accvgpr_read_b32 v[vgprValuC+52], acc14 // copy acc to vreg[14]
v_accvgpr_read_b32 v[vgprValuC+55], acc15 // copy acc to vreg[15]
v_accvgpr_read_b32 v[vgprValuC+58], acc16 // copy acc to vreg[16]
v_accvgpr_read_b32 v[vgprValuC+61], acc17 // copy acc to vreg[17]
s_nop 1                                            // 2 wait states required before reading vgpr

/* rC *= alpha batchElements=[(0, 0, 0, 0), (0, 0, 0, 1), (0, 0, 0, 2), (0, 0, 0, 3), (0, 1, 0, 0), (0, 1, 0, 1), (0, 1, 0, 2), (0, 1, 0, 3), (0, 0, 1, 0), (0, 0, 1, 1), (0, 0, 1, 2), (0, 0, 1, 3), (0, 1, 1, 0), (0, 1, 1, 1), (0, 1, 1, 2), (0, 1, 1, 3), (0, 0, 2, 0), (0, 0, 2, 1)] */
v_mul_f32 v[vgprValuC+8], s[sgprAlpha], v[vgprValuC+8] // *= alpha
v_mul_f32 v[vgprValuC+11], s[sgprAlpha], v[vgprValuC+11] // *= alpha
v_mul_f32 v[vgprValuC+14], s[sgprAlpha], v[vgprValuC+14] // *= alpha
v_mul_f32 v[vgprValuC+17], s[sgprAlpha], v[vgprValuC+17] // *= alpha
v_mul_f32 v[vgprValuC+20], s[sgprAlpha], v[vgprValuC+20] // *= alpha
v_mul_f32 v[vgprValuC+23], s[sgprAlpha], v[vgprValuC+23] // *= alpha
v_mul_f32 v[vgprValuC+26], s[sgprAlpha], v[vgprValuC+26] // *= alpha
v_mul_f32 v[vgprValuC+29], s[sgprAlpha], v[vgprValuC+29] // *= alpha
v_mul_f32 v[vgprValuC+32], s[sgprAlpha], v[vgprValuC+32] // *= alpha
v_mul_f32 v[vgprValuC+35], s[sgprAlpha], v[vgprValuC+35] // *= alpha
v_mul_f32 v[vgprValuC+38], s[sgprAlpha], v[vgprValuC+38] // *= alpha
v_mul_f32 v[vgprValuC+41], s[sgprAlpha], v[vgprValuC+41] // *= alpha
v_mul_f32 v[vgprValuC+44], s[sgprAlpha], v[vgprValuC+44] // *= alpha
v_mul_f32 v[vgprValuC+47], s[sgprAlpha], v[vgprValuC+47] // *= alpha
v_mul_f32 v[vgprValuC+52], s[sgprAlpha], v[vgprValuC+52] // *= alpha
v_mul_f32 v[vgprValuC+55], s[sgprAlpha], v[vgprValuC+55] // *= alpha
v_mul_f32 v[vgprValuC+58], s[sgprAlpha], v[vgprValuC+58] // *= alpha
v_mul_f32 v[vgprValuC+61], s[sgprAlpha], v[vgprValuC+61] // *= alpha
s_waitcnt vmcnt(0)                                 // wait C

/* apply mask, calc new C and issue writes */
_v_mac_f32 v[vgprValuC+8], v7, s[sgprBeta]         // finalSum = sum*alpha + C*beta
_buffer_store_b32 v8, v6, s[sgprSrdD:sgprSrdD+3], 0, offen, offset:0 // store D
_v_mac_f32 v[vgprValuC+11], v10, s[sgprBeta]       // finalSum = sum*alpha + C*beta
_buffer_store_b32 v11, v9, s[sgprSrdD:sgprSrdD+3], 0, offen, offset:0 // store D
_v_mac_f32 v[vgprValuC+14], v13, s[sgprBeta]       // finalSum = sum*alpha + C*beta
	;; [unrolled: 2-line block ×17, first 2 shown]
_buffer_store_b32 v61, v59, s[sgprSrdD:sgprSrdD+3], 0, offen, offset:0 // store D
s_nop 0                                            // 1 wait state required when next inst writes vgprs held by previous dwordx4 store inst
/* optSingleColVgpr=0 optSharedColVgpr=0 optSGPRUsage=BufferLoad_Edge_Mask optSrdIncForRow=0 */

/******************************************/
/* Global Write Alpha Beta Edge Batch #1 (d1,d0,vc1,vc0) = */
/*    (0,0,2,2:vw1); (0,0,2,3:vw1); (0,1,2,0:vw1); (0,1,2,1:vw1); (0,1,2,2:vw1); (0,1,2,3:vw1); (0,0,3,0:vw1); (0,0,3,1:vw1); (0,0,3,2:vw1); (0,0,3,3:vw1); (0,1,3,0:vw1); (0,1,3,1:vw1); (0,1,3,2:vw1); (0,1,3,3:vw1) */
/******************************************/

/* calc coords, apply mask, and issue loads (if necessary) */
/* (d1,vc1,d0,vc0)=(0,2,0,2) */
_v_add_co_u32 v4, vcc, v0, 2                       // coord0.1: coord0 += d0*sg0*VW + vc0
v_cmp_lt_u32 s[54:55], v4, s[sgprSizeI]            // coord0 < size0
v_cmp_lt_u32 s[58:59], v1, s[sgprSizeJ]            // coord1 < size1
s_and_b64 s[58:59], s[54:55], s[58:59]             // in0 && in1
_v_add_lshl_u32 v6, v2, v4, 0x2                    // scaleToBpe: accumulate d0 lower and *= bpe into Cin addr
v_cndmask_b32 v6, -1, v6, s[58:59]                 // LDC clip if OOB. offset
_buffer_load_b32 v7, v6, s[sgprSrdC:sgprSrdC+3], 0, offen offset:0 // load C for beta calc
_v_add_lshl_u32 v6, v3, v4, 0x2                    // scaleToBpe: accumulate d0 lower and *= bpe into Cin addr
v_cndmask_b32 v6, -1, v6, s[58:59]                 // LDD clip if OOB. offset
/* (d1,vc1,d0,vc0)=(0,2,0,3) */
_v_add_co_u32 v4, vcc, v0, 3                       // coord0.1: coord0 += d0*sg0*VW + vc0
v_cmp_lt_u32 s[54:55], v4, s[sgprSizeI]            // coord0 < size0
v_cmp_lt_u32 s[58:59], v1, s[sgprSizeJ]            // coord1 < size1
s_and_b64 s[58:59], s[54:55], s[58:59]             // in0 && in1
_v_add_lshl_u32 v9, v2, v4, 0x2                    // scaleToBpe: accumulate d0 lower and *= bpe into Cin addr
v_cndmask_b32 v9, -1, v9, s[58:59]                 // LDC clip if OOB. offset
_buffer_load_b32 v10, v9, s[sgprSrdC:sgprSrdC+3], 0, offen offset:0 // load C for beta calc
_v_add_lshl_u32 v9, v3, v4, 0x2                    // scaleToBpe: accumulate d0 lower and *= bpe into Cin addr
v_cndmask_b32 v9, -1, v9, s[58:59]                 // LDD clip if OOB. offset
/* (d1,vc1,d0,vc0)=(0,2,1,0) */
_v_add_co_u32 v4, vcc, v0, 16                      // coord0.1: coord0 += d0*sg0*VW + vc0
v_cmp_lt_u32 s[54:55], v4, s[sgprSizeI]            // coord0 < size0
v_cmp_lt_u32 s[58:59], v1, s[sgprSizeJ]            // coord1 < size1
s_and_b64 s[58:59], s[54:55], s[58:59]             // in0 && in1
_v_add_lshl_u32 v12, v2, v4, 0x2                   // scaleToBpe: accumulate d0 lower and *= bpe into Cin addr
v_cndmask_b32 v12, -1, v12, s[58:59]               // LDC clip if OOB. offset
_buffer_load_b32 v13, v12, s[sgprSrdC:sgprSrdC+3], 0, offen offset:0 // load C for beta calc
_v_add_lshl_u32 v12, v3, v4, 0x2                   // scaleToBpe: accumulate d0 lower and *= bpe into Cin addr
v_cndmask_b32 v12, -1, v12, s[58:59]               // LDD clip if OOB. offset
/* (d1,vc1,d0,vc0)=(0,2,1,1) */
_v_add_co_u32 v4, vcc, v0, 17                      // coord0.1: coord0 += d0*sg0*VW + vc0
v_cmp_lt_u32 s[54:55], v4, s[sgprSizeI]            // coord0 < size0
v_cmp_lt_u32 s[58:59], v1, s[sgprSizeJ]            // coord1 < size1
s_and_b64 s[58:59], s[54:55], s[58:59]             // in0 && in1
_v_add_lshl_u32 v15, v2, v4, 0x2                   // scaleToBpe: accumulate d0 lower and *= bpe into Cin addr
v_cndmask_b32 v15, -1, v15, s[58:59]               // LDC clip if OOB. offset
_buffer_load_b32 v16, v15, s[sgprSrdC:sgprSrdC+3], 0, offen offset:0 // load C for beta calc
_v_add_lshl_u32 v15, v3, v4, 0x2                   // scaleToBpe: accumulate d0 lower and *= bpe into Cin addr
v_cndmask_b32 v15, -1, v15, s[58:59]               // LDD clip if OOB. offset
	;; [unrolled: 10-line block ×4, first 2 shown]
/* (d1,vc1,d0,vc0)=(0,3,0,0) */
_v_add_co_u32 v1, vcc, v1, 1                       // coord1.1: coord1Vgpr += d1*sg1*VW + vc1

/* Fix for UseInitialStridesCD, emitAddressSetupCode */
_v_add_u32 v2, v2, s[sgprStrideC1J]                // ROWINC- Move cinRowPtr to next row
_v_add_u32 v3, v3, s[sgprStrideD1J]                // Move coutRowPtr to next row
v_cmp_lt_u32 s[54:55], v0, s[sgprSizeI]            // coord0 < size0
v_cmp_lt_u32 s[58:59], v1, s[sgprSizeJ]            // coord1 < size1
s_and_b64 s[58:59], s[54:55], s[58:59]             // in0 && in1
_v_add_lshl_u32 v24, v2, v0, 0x2                   // scaleToBpe: accumulate d0 lower and *= bpe into Cin addr
v_cndmask_b32 v24, -1, v24, s[58:59]               // LDC clip if OOB. offset
_buffer_load_b32 v25, v24, s[sgprSrdC:sgprSrdC+3], 0, offen offset:0 // load C for beta calc
_v_add_lshl_u32 v24, v3, v0, 0x2                   // scaleToBpe: accumulate d0 lower and *= bpe into Cin addr
v_cndmask_b32 v24, -1, v24, s[58:59]               // LDD clip if OOB. offset
/* (d1,vc1,d0,vc0)=(0,3,0,1) */
_v_add_co_u32 v4, vcc, v0, 1                       // coord0.1: coord0 += d0*sg0*VW + vc0
v_cmp_lt_u32 s[54:55], v4, s[sgprSizeI]            // coord0 < size0
v_cmp_lt_u32 s[58:59], v1, s[sgprSizeJ]            // coord1 < size1
s_and_b64 s[58:59], s[54:55], s[58:59]             // in0 && in1
_v_add_lshl_u32 v27, v2, v4, 0x2                   // scaleToBpe: accumulate d0 lower and *= bpe into Cin addr
v_cndmask_b32 v27, -1, v27, s[58:59]               // LDC clip if OOB. offset
_buffer_load_b32 v28, v27, s[sgprSrdC:sgprSrdC+3], 0, offen offset:0 // load C for beta calc
_v_add_lshl_u32 v27, v3, v4, 0x2                   // scaleToBpe: accumulate d0 lower and *= bpe into Cin addr
v_cndmask_b32 v27, -1, v27, s[58:59]               // LDD clip if OOB. offset
/* (d1,vc1,d0,vc0)=(0,3,0,2) */
_v_add_co_u32 v4, vcc, v0, 2                       // coord0.1: coord0 += d0*sg0*VW + vc0
	;; [unrolled: 10-line block ×3, first 2 shown]
v_cmp_lt_u32 s[54:55], v4, s[sgprSizeI]            // coord0 < size0
v_cmp_lt_u32 s[58:59], v1, s[sgprSizeJ]            // coord1 < size1
s_and_b64 s[58:59], s[54:55], s[58:59]             // in0 && in1
_v_add_lshl_u32 v33, v2, v4, 0x2                   // scaleToBpe: accumulate d0 lower and *= bpe into Cin addr
v_cndmask_b32 v33, -1, v33, s[58:59]               // LDC clip if OOB. offset
_buffer_load_b32 v34, v33, s[sgprSrdC:sgprSrdC+3], 0, offen offset:0 // load C for beta calc
_v_add_lshl_u32 v33, v3, v4, 0x2                   // scaleToBpe: accumulate d0 lower and *= bpe into Cin addr
v_cndmask_b32 v33, -1, v33, s[58:59]               // LDD clip if OOB. offset
/* (d1,vc1,d0,vc0)=(0,3,1,0) */
_v_add_co_u32 v4, vcc, v0, 16                      // coord0.1: coord0 += d0*sg0*VW + vc0
v_cmp_lt_u32 s[54:55], v4, s[sgprSizeI]            // coord0 < size0
v_cmp_lt_u32 s[58:59], v1, s[sgprSizeJ]            // coord1 < size1
s_and_b64 s[58:59], s[54:55], s[58:59]             // in0 && in1
_v_add_lshl_u32 v36, v2, v4, 0x2                   // scaleToBpe: accumulate d0 lower and *= bpe into Cin addr
v_cndmask_b32 v36, -1, v36, s[58:59]               // LDC clip if OOB. offset
_buffer_load_b32 v37, v36, s[sgprSrdC:sgprSrdC+3], 0, offen offset:0 // load C for beta calc
_v_add_lshl_u32 v36, v3, v4, 0x2                   // scaleToBpe: accumulate d0 lower and *= bpe into Cin addr
v_cndmask_b32 v36, -1, v36, s[58:59]               // LDD clip if OOB. offset
/* (d1,vc1,d0,vc0)=(0,3,1,1) */
_v_add_co_u32 v4, vcc, v0, 17                      // coord0.1: coord0 += d0*sg0*VW + vc0
	;; [unrolled: 10-line block ×4, first 2 shown]
v_cmp_lt_u32 s[54:55], v4, s[sgprSizeI]            // coord0 < size0
v_cmp_lt_u32 s[58:59], v1, s[sgprSizeJ]            // coord1 < size1
s_and_b64 s[58:59], s[54:55], s[58:59]             // in0 && in1
_v_add_lshl_u32 v45, v2, v4, 0x2                   // scaleToBpe: accumulate d0 lower and *= bpe into Cin addr
v_cndmask_b32 v45, -1, v45, s[58:59]               // LDC clip if OOB. offset
_buffer_load_b32 v46, v45, s[sgprSrdC:sgprSrdC+3], 0, offen offset:0 // load C for beta calc
_v_add_lshl_u32 v45, v3, v4, 0x2                   // scaleToBpe: accumulate d0 lower and *= bpe into Cin addr
v_cndmask_b32 v45, -1, v45, s[58:59]               // LDD clip if OOB. offset
v_accvgpr_read_b32 v[vgprValuC+8], acc18 // copy acc to vreg[18]
v_accvgpr_read_b32 v[vgprValuC+11], acc19 // copy acc to vreg[19]
v_accvgpr_read_b32 v[vgprValuC+14], acc20 // copy acc to vreg[20]
v_accvgpr_read_b32 v[vgprValuC+17], acc21 // copy acc to vreg[21]
v_accvgpr_read_b32 v[vgprValuC+20], acc22 // copy acc to vreg[22]
v_accvgpr_read_b32 v[vgprValuC+23], acc23 // copy acc to vreg[23]
v_accvgpr_read_b32 v[vgprValuC+26], acc24 // copy acc to vreg[24]
v_accvgpr_read_b32 v[vgprValuC+29], acc25 // copy acc to vreg[25]
v_accvgpr_read_b32 v[vgprValuC+32], acc26 // copy acc to vreg[26]
v_accvgpr_read_b32 v[vgprValuC+35], acc27 // copy acc to vreg[27]
v_accvgpr_read_b32 v[vgprValuC+38], acc28 // copy acc to vreg[28]
v_accvgpr_read_b32 v[vgprValuC+41], acc29 // copy acc to vreg[29]
v_accvgpr_read_b32 v[vgprValuC+44], acc30 // copy acc to vreg[30]
v_accvgpr_read_b32 v[vgprValuC+47], acc31 // copy acc to vreg[31]
s_nop 1                                            // 2 wait states required before reading vgpr

/* rC *= alpha batchElements=[(0, 0, 2, 2), (0, 0, 2, 3), (0, 1, 2, 0), (0, 1, 2, 1), (0, 1, 2, 2), (0, 1, 2, 3), (0, 0, 3, 0), (0, 0, 3, 1), (0, 0, 3, 2), (0, 0, 3, 3), (0, 1, 3, 0), (0, 1, 3, 1), (0, 1, 3, 2), (0, 1, 3, 3)] */
v_mul_f32 v[vgprValuC+8], s[sgprAlpha], v[vgprValuC+8] // *= alpha
v_mul_f32 v[vgprValuC+11], s[sgprAlpha], v[vgprValuC+11] // *= alpha
	;; [unrolled: 1-line block ×14, first 2 shown]
s_waitcnt vmcnt(0)                                 // wait C

/* apply mask, calc new C and issue writes */
_v_mac_f32 v[vgprValuC+8], v7, s[sgprBeta]         // finalSum = sum*alpha + C*beta
_buffer_store_b32 v8, v6, s[sgprSrdD:sgprSrdD+3], 0, offen, offset:0 // store D
_v_mac_f32 v[vgprValuC+11], v10, s[sgprBeta]       // finalSum = sum*alpha + C*beta
_buffer_store_b32 v11, v9, s[sgprSrdD:sgprSrdD+3], 0, offen, offset:0 // store D
_v_mac_f32 v[vgprValuC+14], v13, s[sgprBeta]       // finalSum = sum*alpha + C*beta
	;; [unrolled: 2-line block ×13, first 2 shown]
_buffer_store_b32 v47, v45, s[sgprSrdD:sgprSrdD+3], 0, offen, offset:0 // store D
s_nop 0                                            // 1 wait state required when next inst writes vgprs held by previous dwordx4 store inst
s_branch label_GW_End_76                           // jump to end
label_GW_End_76:

label_0081:  /// KernelEnd
s_endpgm                                           // Kernel End

